;; amdgpu-corpus repo=ROCm/rocFFT kind=compiled arch=gfx950 opt=O3
	.text
	.amdgcn_target "amdgcn-amd-amdhsa--gfx950"
	.amdhsa_code_object_version 6
	.protected	bluestein_single_fwd_len119_dim1_dp_op_CI_CI ; -- Begin function bluestein_single_fwd_len119_dim1_dp_op_CI_CI
	.globl	bluestein_single_fwd_len119_dim1_dp_op_CI_CI
	.p2align	8
	.type	bluestein_single_fwd_len119_dim1_dp_op_CI_CI,@function
bluestein_single_fwd_len119_dim1_dp_op_CI_CI: ; @bluestein_single_fwd_len119_dim1_dp_op_CI_CI
; %bb.0:
	s_load_dwordx4 s[8:11], s[0:1], 0x28
	v_mul_u32_u24_e32 v1, 0xf10, v0
	v_lshrrev_b32_e32 v2, 16, v1
	v_mad_u64_u32 v[4:5], s[2:3], s2, 15, v[2:3]
	v_mov_b32_e32 v5, 0
	s_waitcnt lgkmcnt(0)
	v_cmp_gt_u64_e32 vcc, s[8:9], v[4:5]
	s_and_saveexec_b64 s[2:3], vcc
	s_cbranch_execz .LBB0_15
; %bb.1:
	v_mul_lo_u16_e32 v1, 17, v2
	s_mov_b32 s2, 0x88888889
	v_sub_u16_e32 v144, v0, v1
	v_mul_hi_u32 v0, v4, s2
	v_lshrrev_b32_e32 v0, 3, v0
	s_load_dwordx2 s[8:9], s[0:1], 0x0
	s_load_dwordx2 s[12:13], s[0:1], 0x38
	v_mul_lo_u32 v0, v0, 15
	v_sub_u32_e32 v0, v4, v0
	v_mul_u32_u24_e32 v211, 0x77, v0
	v_lshlrev_b32_e32 v0, 4, v211
	v_accvgpr_write_b32 a2, v4
	v_cmp_gt_u16_e32 vcc, 7, v144
	v_lshlrev_b32_e32 v210, 4, v144
	v_accvgpr_write_b32 a1, v0
	v_or_b32_e32 v145, 56, v144
	s_and_saveexec_b64 s[2:3], vcc
	s_cbranch_execz .LBB0_3
; %bb.2:
	s_load_dwordx2 s[4:5], s[0:1], 0x18
	v_accvgpr_read_b32 v10, a2
	v_mov_b32_e32 v0, s10
	v_mov_b32_e32 v1, s11
	;; [unrolled: 1-line block ×3, first 2 shown]
	s_waitcnt lgkmcnt(0)
	s_load_dwordx4 s[4:7], s[4:5], 0x0
	v_accvgpr_read_b32 v28, a1
	v_lshl_add_u32 v142, v144, 4, v28
	v_add_u32_e32 v143, v28, v210
	v_mov_b32_e32 v53, 0xe0
	s_waitcnt lgkmcnt(0)
	v_mad_u64_u32 v[2:3], s[10:11], s6, v10, 0
	v_mad_u64_u32 v[4:5], s[10:11], s4, v144, 0
	v_mov_b32_e32 v6, v3
	v_mov_b32_e32 v8, v5
	v_mad_u64_u32 v[6:7], s[6:7], s7, v10, v[6:7]
	v_mov_b32_e32 v3, v6
	v_mad_u64_u32 v[6:7], s[6:7], s5, v144, v[8:9]
	v_mov_b32_e32 v5, v6
	v_lshl_add_u64 v[48:49], v[2:3], 4, v[0:1]
	v_lshl_add_u64 v[50:51], v[4:5], 4, v[48:49]
	v_mad_u64_u32 v[94:95], s[6:7], s4, v145, 0
	global_load_dwordx4 v[0:3], v[50:51], off
	global_load_dwordx4 v[4:7], v210, s[8:9]
	s_mul_i32 s10, s5, 0x70
	v_mad_u64_u32 v[50:51], s[6:7], s4, v52, v[50:51]
	v_mov_b32_e32 v96, v95
	v_add_u32_e32 v51, s10, v51
	v_mad_u64_u32 v[96:97], s[6:7], s5, v145, v[96:97]
	global_load_dwordx4 v[8:11], v210, s[8:9] offset:112
	global_load_dwordx4 v[12:15], v210, s[8:9] offset:224
	;; [unrolled: 1-line block ×11, first 2 shown]
	global_load_dwordx4 v[58:61], v[50:51], off
	global_load_dwordx4 v[62:65], v210, s[8:9] offset:1344
	global_load_dwordx4 v[66:69], v210, s[8:9] offset:1456
	v_mad_u64_u32 v[50:51], s[6:7], s4, v52, v[50:51]
	v_mov_b32_e32 v95, v96
	v_add_u32_e32 v51, s10, v51
	v_lshl_add_u64 v[94:95], v[94:95], 4, v[48:49]
	global_load_dwordx4 v[70:73], v[50:51], off
	s_mul_i32 s11, s5, 0xe0
	global_load_dwordx4 v[94:97], v[94:95], off
	v_mad_u64_u32 v[50:51], s[6:7], s4, v52, v[50:51]
	v_add_u32_e32 v51, s10, v51
	global_load_dwordx4 v[74:77], v[50:51], off
	v_mad_u64_u32 v[50:51], s[6:7], s4, v52, v[50:51]
	v_add_u32_e32 v51, s10, v51
	;; [unrolled: 3-line block ×9, first 2 shown]
	v_mad_u64_u32 v[118:119], s[6:7], s4, v52, v[50:51]
	v_add_u32_e32 v119, s10, v119
	v_mad_u64_u32 v[122:123], s[6:7], s4, v52, v[118:119]
	global_load_dwordx4 v[110:113], v[50:51], off
	v_add_u32_e32 v123, s10, v123
	v_mad_u64_u32 v[52:53], s[6:7], s4, v52, v[122:123]
	global_load_dwordx4 v[114:117], v[118:119], off
	v_add_u32_e32 v53, s10, v53
	v_or_b32_e32 v135, 0x70, v144
	global_load_dwordx4 v[118:121], v[122:123], off
	s_nop 0
	global_load_dwordx4 v[122:125], v[52:53], off
	global_load_dwordx4 v[126:129], v210, s[8:9] offset:1568
	global_load_dwordx4 v[130:133], v210, s[8:9] offset:1680
	v_mad_u64_u32 v[52:53], s[6:7], s4, v135, 0
	v_mov_b32_e32 v134, v53
	v_mad_u64_u32 v[134:135], s[4:5], s5, v135, v[134:135]
	v_mov_b32_e32 v53, v134
	v_lshl_add_u64 v[48:49], v[52:53], 4, v[48:49]
	global_load_dwordx4 v[134:137], v[48:49], off
	global_load_dwordx4 v[138:141], v210, s[8:9] offset:1792
	s_waitcnt vmcnt(32)
	v_mul_f64 v[50:51], v[2:3], v[6:7]
	v_mul_f64 v[6:7], v[0:1], v[6:7]
	v_fmac_f64_e32 v[50:51], v[0:1], v[4:5]
	v_fma_f64 v[52:53], v[2:3], v[4:5], -v[6:7]
	ds_write_b128 v142, v[50:53]
	s_waitcnt vmcnt(20)
	v_mul_f64 v[0:1], v[60:61], v[10:11]
	v_mul_f64 v[2:3], v[58:59], v[10:11]
	v_fmac_f64_e32 v[0:1], v[58:59], v[8:9]
	v_fma_f64 v[2:3], v[60:61], v[8:9], -v[2:3]
	ds_write_b128 v143, v[0:3] offset:112
	s_waitcnt vmcnt(17)
	v_mul_f64 v[0:1], v[72:73], v[14:15]
	v_mul_f64 v[2:3], v[70:71], v[14:15]
	v_fmac_f64_e32 v[0:1], v[70:71], v[12:13]
	v_fma_f64 v[2:3], v[72:73], v[12:13], -v[2:3]
	ds_write_b128 v143, v[0:3] offset:224
	;; [unrolled: 6-line block ×6, first 2 shown]
	s_waitcnt vmcnt(11)
	v_mul_f64 v[0:1], v[90:91], v[34:35]
	v_fma_f64 v[2:3], v[92:93], v[32:33], -v[0:1]
	v_mul_f64 v[0:1], v[92:93], v[34:35]
	v_fmac_f64_e32 v[0:1], v[90:91], v[32:33]
	ds_write_b128 v143, v[0:3] offset:784
	v_mul_f64 v[0:1], v[96:97], v[38:39]
	v_mul_f64 v[2:3], v[94:95], v[38:39]
	v_fmac_f64_e32 v[0:1], v[94:95], v[36:37]
	v_fma_f64 v[2:3], v[96:97], v[36:37], -v[2:3]
	ds_write_b128 v143, v[0:3] offset:896
	s_waitcnt vmcnt(10)
	v_mul_f64 v[0:1], v[100:101], v[42:43]
	v_mul_f64 v[2:3], v[98:99], v[42:43]
	v_fmac_f64_e32 v[0:1], v[98:99], v[40:41]
	v_fma_f64 v[2:3], v[100:101], v[40:41], -v[2:3]
	ds_write_b128 v143, v[0:3] offset:1008
	s_waitcnt vmcnt(9)
	;; [unrolled: 6-line block ×8, first 2 shown]
	v_mul_f64 v[0:1], v[136:137], v[140:141]
	v_mul_f64 v[2:3], v[134:135], v[140:141]
	v_fmac_f64_e32 v[0:1], v[134:135], v[138:139]
	v_fma_f64 v[2:3], v[136:137], v[138:139], -v[2:3]
	ds_write_b128 v143, v[0:3] offset:1792
.LBB0_3:
	s_or_b64 exec, exec, s[2:3]
	s_load_dwordx2 s[2:3], s[0:1], 0x20
	s_load_dwordx2 s[4:5], s[0:1], 0x8
	s_waitcnt lgkmcnt(0)
	s_barrier
	s_waitcnt lgkmcnt(0)
                                        ; implicit-def: $vgpr42_vgpr43
                                        ; implicit-def: $vgpr38_vgpr39
                                        ; implicit-def: $vgpr34_vgpr35
                                        ; implicit-def: $vgpr30_vgpr31
                                        ; implicit-def: $vgpr26_vgpr27
                                        ; implicit-def: $vgpr44_vgpr45
                                        ; implicit-def: $vgpr48_vgpr49
                                        ; implicit-def: $vgpr52_vgpr53
                                        ; implicit-def: $vgpr60_vgpr61
                                        ; implicit-def: $vgpr64_vgpr65
                                        ; implicit-def: $vgpr68_vgpr69
                                        ; implicit-def: $vgpr72_vgpr73
                                        ; implicit-def: $vgpr76_vgpr77
                                        ; implicit-def: $vgpr80_vgpr81
                                        ; implicit-def: $vgpr84_vgpr85
                                        ; implicit-def: $vgpr88_vgpr89
                                        ; implicit-def: $vgpr92_vgpr93
	s_and_saveexec_b64 s[0:1], vcc
	s_cbranch_execz .LBB0_5
; %bb.4:
	v_lshl_add_u32 v0, v211, 4, v210
	ds_read_b128 v[24:27], v0
	ds_read_b128 v[28:31], v0 offset:112
	ds_read_b128 v[32:35], v0 offset:224
	;; [unrolled: 1-line block ×16, first 2 shown]
.LBB0_5:
	s_or_b64 exec, exec, s[0:1]
	s_mov_b32 s38, 0x5d8e7cdc
	s_waitcnt lgkmcnt(0)
	v_add_f64 v[96:97], v[30:31], -v[94:95]
	s_mov_b32 s39, 0xbfd71e95
	s_mov_b32 s46, 0x2a9d6da3
	;; [unrolled: 1-line block ×3, first 2 shown]
	v_mul_f64 v[0:1], v[96:97], s[38:39]
	s_mov_b32 s47, 0xbfe58eea
	v_add_f64 v[110:111], v[34:35], -v[90:91]
	v_add_f64 v[130:131], v[28:29], v[92:93]
	v_add_f64 v[98:99], v[28:29], -v[92:93]
	s_mov_b32 s1, 0x3fedd6d0
	v_accvgpr_write_b32 a5, v1
	s_mov_b32 s18, 0x75d4884
	v_mul_f64 v[112:113], v[110:111], s[46:47]
	v_add_f64 v[132:133], v[30:31], v[94:95]
	v_mul_f64 v[2:3], v[98:99], s[38:39]
	v_accvgpr_write_b32 a4, v0
	v_fma_f64 v[0:1], s[0:1], v[130:131], v[0:1]
	s_mov_b32 s19, 0x3fe7a5f6
	v_add_f64 v[148:149], v[32:33], v[88:89]
	v_add_f64 v[108:109], v[32:33], -v[88:89]
	v_accvgpr_write_b32 a18, v112
	v_add_f64 v[14:15], v[24:25], v[0:1]
	v_accvgpr_write_b32 a7, v3
	v_fma_f64 v[0:1], v[132:133], s[0:1], -v[2:3]
	s_mov_b32 s40, 0xeb564b22
	v_add_f64 v[150:151], v[34:35], v[90:91]
	v_mul_f64 v[114:115], v[108:109], s[46:47]
	v_accvgpr_write_b32 a19, v113
	v_fma_f64 v[112:113], s[18:19], v[148:149], v[112:113]
	v_accvgpr_write_b32 a6, v2
	v_add_f64 v[0:1], v[26:27], v[0:1]
	v_mul_f64 v[2:3], v[96:97], s[46:47]
	s_mov_b32 s41, 0xbfefdd0d
	v_add_f64 v[14:15], v[112:113], v[14:15]
	v_fma_f64 v[112:113], v[150:151], s[18:19], -v[114:115]
	v_mul_f64 v[4:5], v[98:99], s[46:47]
	v_accvgpr_write_b32 a9, v3
	s_mov_b32 s14, 0x3259b75e
	v_add_f64 v[0:1], v[112:113], v[0:1]
	v_mul_f64 v[112:113], v[110:111], s[40:41]
	v_accvgpr_write_b32 a8, v2
	v_fma_f64 v[2:3], s[18:19], v[130:131], v[2:3]
	v_accvgpr_write_b32 a11, v5
	s_mov_b32 s34, 0x7c9e640b
	s_mov_b32 s15, 0x3fb79ee6
	v_accvgpr_write_b32 a22, v114
	v_accvgpr_write_b32 a26, v112
	v_add_f64 v[2:3], v[24:25], v[2:3]
	v_accvgpr_write_b32 a10, v4
	v_fma_f64 v[4:5], v[132:133], s[18:19], -v[4:5]
	s_mov_b32 s35, 0xbfeca52d
	s_mov_b32 s26, 0x6c9a05f6
	v_accvgpr_write_b32 a23, v115
	v_mul_f64 v[114:115], v[108:109], s[40:41]
	v_accvgpr_write_b32 a27, v113
	v_fma_f64 v[112:113], s[14:15], v[148:149], v[112:113]
	v_add_f64 v[4:5], v[26:27], v[4:5]
	s_mov_b32 s6, 0x2b2883cd
	v_mul_f64 v[6:7], v[96:97], s[34:35]
	s_mov_b32 s27, 0xbfe9895b
	v_add_f64 v[2:3], v[112:113], v[2:3]
	v_fma_f64 v[112:113], v[150:151], s[14:15], -v[114:115]
	s_mov_b32 s7, 0x3fdc86fa
	v_accvgpr_write_b32 a13, v7
	s_mov_b32 s16, 0x6ed5f1bb
	v_add_f64 v[4:5], v[112:113], v[4:5]
	v_mul_f64 v[112:113], v[110:111], s[26:27]
	v_mul_f64 v[8:9], v[98:99], s[34:35]
	v_accvgpr_write_b32 a12, v6
	v_fma_f64 v[6:7], s[6:7], v[130:131], v[6:7]
	s_mov_b32 s17, 0xbfe348c8
	v_accvgpr_write_b32 a28, v114
	v_accvgpr_write_b32 a36, v112
	v_add_f64 v[16:17], v[24:25], v[6:7]
	v_fma_f64 v[6:7], v[132:133], s[6:7], -v[8:9]
	s_mov_b32 s36, 0xacd6c6b4
	v_accvgpr_write_b32 a29, v115
	v_mul_f64 v[114:115], v[108:109], s[26:27]
	v_accvgpr_write_b32 a37, v113
	v_fma_f64 v[112:113], s[16:17], v[148:149], v[112:113]
	v_add_f64 v[18:19], v[26:27], v[6:7]
	v_mul_f64 v[6:7], v[96:97], s[40:41]
	s_mov_b32 s37, 0xbfc7851a
	v_add_f64 v[16:17], v[112:113], v[16:17]
	v_fma_f64 v[112:113], v[150:151], s[16:17], -v[114:115]
	v_accvgpr_write_b32 a15, v9
	v_accvgpr_write_b32 a17, v7
	s_mov_b32 s22, 0x7faef3
	v_add_f64 v[18:19], v[112:113], v[18:19]
	v_mul_f64 v[112:113], v[110:111], s[36:37]
	v_accvgpr_write_b32 a14, v8
	v_mul_f64 v[8:9], v[98:99], s[40:41]
	v_accvgpr_write_b32 a16, v6
	v_fma_f64 v[6:7], s[14:15], v[130:131], v[6:7]
	s_mov_b32 s24, 0x923c349f
	s_mov_b32 s23, 0xbfef7484
	v_accvgpr_write_b32 a38, v114
	v_accvgpr_write_b32 a44, v112
	v_add_f64 v[104:105], v[24:25], v[6:7]
	v_fma_f64 v[6:7], v[132:133], s[14:15], -v[8:9]
	s_mov_b32 s25, 0xbfeec746
	s_mov_b32 s30, 0x4363dd80
	v_accvgpr_write_b32 a39, v115
	v_mul_f64 v[114:115], v[108:109], s[36:37]
	v_accvgpr_write_b32 a45, v113
	v_fma_f64 v[112:113], s[22:23], v[148:149], v[112:113]
	v_accvgpr_write_b32 a21, v9
	v_add_f64 v[106:107], v[26:27], v[6:7]
	s_mov_b32 s10, 0xc61f0d01
	v_mul_f64 v[6:7], v[96:97], s[24:25]
	s_mov_b32 s31, 0xbfe0d888
	v_add_f64 v[104:105], v[112:113], v[104:105]
	v_fma_f64 v[112:113], v[150:151], s[22:23], -v[114:115]
	s_mov_b32 s51, 0x3fe0d888
	s_mov_b32 s50, s30
	v_accvgpr_write_b32 a20, v8
	s_mov_b32 s11, 0xbfd183b1
	v_mul_f64 v[8:9], v[98:99], s[24:25]
	v_accvgpr_write_b32 a25, v7
	s_mov_b32 s20, 0x910ea3b9
	v_add_f64 v[106:107], v[112:113], v[106:107]
	v_mul_f64 v[112:113], v[110:111], s[50:51]
	v_accvgpr_write_b32 a24, v6
	v_fma_f64 v[6:7], s[10:11], v[130:131], v[6:7]
	v_accvgpr_write_b32 a31, v9
	s_mov_b32 s21, 0xbfeb34fa
	v_accvgpr_write_b32 a48, v114
	v_accvgpr_write_b32 a52, v112
	v_add_f64 v[6:7], v[24:25], v[6:7]
	v_accvgpr_write_b32 a30, v8
	v_fma_f64 v[8:9], v[132:133], s[10:11], -v[8:9]
	v_accvgpr_write_b32 a49, v115
	v_mul_f64 v[114:115], v[108:109], s[50:51]
	v_accvgpr_write_b32 a53, v113
	v_fma_f64 v[112:113], s[20:21], v[148:149], v[112:113]
	v_add_f64 v[8:9], v[26:27], v[8:9]
	v_mul_f64 v[10:11], v[96:97], s[26:27]
	v_add_f64 v[6:7], v[112:113], v[6:7]
	v_fma_f64 v[112:113], v[150:151], s[20:21], -v[114:115]
	s_mov_b32 s49, 0x3feec746
	s_mov_b32 s48, s24
	v_mul_f64 v[12:13], v[98:99], s[26:27]
	v_accvgpr_write_b32 a33, v11
	v_add_f64 v[8:9], v[112:113], v[8:9]
	v_mul_f64 v[112:113], v[110:111], s[48:49]
	v_accvgpr_write_b32 a32, v10
	v_fma_f64 v[10:11], s[16:17], v[130:131], v[10:11]
	v_accvgpr_write_b32 a35, v13
	v_accvgpr_write_b32 a54, v114
	;; [unrolled: 1-line block ×3, first 2 shown]
	v_add_f64 v[10:11], v[24:25], v[10:11]
	v_accvgpr_write_b32 a34, v12
	v_fma_f64 v[12:13], v[132:133], s[16:17], -v[12:13]
	v_accvgpr_write_b32 a55, v115
	v_mul_f64 v[114:115], v[108:109], s[48:49]
	v_accvgpr_write_b32 a59, v113
	v_fma_f64 v[112:113], s[10:11], v[148:149], v[112:113]
	v_add_f64 v[12:13], v[26:27], v[12:13]
	v_mul_f64 v[56:57], v[96:97], s[30:31]
	v_add_f64 v[10:11], v[112:113], v[10:11]
	v_fma_f64 v[112:113], v[150:151], s[10:11], -v[114:115]
	s_mov_b32 s29, 0x3feca52d
	s_mov_b32 s28, s34
	v_fma_f64 v[20:21], v[130:131], s[20:21], -v[56:57]
	v_accvgpr_write_b32 a60, v114
	v_add_f64 v[12:13], v[112:113], v[12:13]
	v_mul_f64 v[112:113], v[110:111], s[28:29]
	v_add_f64 v[20:21], v[24:25], v[20:21]
	v_mul_f64 v[58:59], v[98:99], s[30:31]
	v_fmac_f64_e32 v[56:57], s[20:21], v[130:131]
	v_accvgpr_write_b32 a61, v115
	v_fma_f64 v[114:115], v[148:149], s[6:7], -v[112:113]
	v_fma_f64 v[22:23], s[20:21], v[132:133], v[58:59]
	v_add_f64 v[56:57], v[24:25], v[56:57]
	v_fma_f64 v[58:59], v[132:133], s[20:21], -v[58:59]
	v_mul_f64 v[100:101], v[96:97], s[36:37]
	v_add_f64 v[20:21], v[114:115], v[20:21]
	v_mul_f64 v[114:115], v[108:109], s[28:29]
	v_fmac_f64_e32 v[112:113], s[6:7], v[148:149]
	s_mov_b32 s45, 0x3fd71e95
	s_mov_b32 s44, s38
	v_add_f64 v[58:59], v[26:27], v[58:59]
	v_fma_f64 v[96:97], v[130:131], s[22:23], -v[100:101]
	v_mul_f64 v[102:103], v[98:99], s[36:37]
	v_fmac_f64_e32 v[100:101], s[22:23], v[130:131]
	v_add_f64 v[56:57], v[112:113], v[56:57]
	v_fma_f64 v[112:113], v[150:151], s[6:7], -v[114:115]
	v_mul_f64 v[110:111], v[110:111], s[44:45]
	v_add_f64 v[96:97], v[24:25], v[96:97]
	v_fma_f64 v[98:99], s[22:23], v[132:133], v[102:103]
	v_add_f64 v[100:101], v[24:25], v[100:101]
	v_add_f64 v[58:59], v[112:113], v[58:59]
	v_fma_f64 v[112:113], v[148:149], s[0:1], -v[110:111]
	v_mul_f64 v[108:109], v[108:109], s[44:45]
	v_fmac_f64_e32 v[110:111], s[0:1], v[148:149]
	v_add_f64 v[98:99], v[26:27], v[98:99]
	v_fma_f64 v[102:103], v[132:133], s[22:23], -v[102:103]
	v_add_f64 v[96:97], v[112:113], v[96:97]
	v_fma_f64 v[112:113], s[0:1], v[150:151], v[108:109]
	v_add_f64 v[100:101], v[110:111], v[100:101]
	v_add_f64 v[110:111], v[38:39], -v[86:87]
	v_add_f64 v[102:103], v[26:27], v[102:103]
	v_add_f64 v[98:99], v[112:113], v[98:99]
	v_fma_f64 v[108:109], v[150:151], s[0:1], -v[108:109]
	v_mul_f64 v[112:113], v[110:111], s[34:35]
	v_add_f64 v[102:103], v[108:109], v[102:103]
	v_add_f64 v[170:171], v[36:37], v[84:85]
	v_add_f64 v[108:109], v[36:37], -v[84:85]
	v_accvgpr_write_b32 a40, v112
	v_fma_f64 v[116:117], s[6:7], v[150:151], v[114:115]
	v_add_f64 v[172:173], v[38:39], v[86:87]
	v_mul_f64 v[114:115], v[108:109], s[34:35]
	v_accvgpr_write_b32 a41, v113
	v_fma_f64 v[112:113], s[6:7], v[170:171], v[112:113]
	v_add_f64 v[14:15], v[112:113], v[14:15]
	v_fma_f64 v[112:113], v[172:173], s[6:7], -v[114:115]
	v_add_f64 v[0:1], v[112:113], v[0:1]
	v_mul_f64 v[112:113], v[110:111], s[26:27]
	v_accvgpr_write_b32 a42, v114
	v_accvgpr_write_b32 a46, v112
	;; [unrolled: 1-line block ×3, first 2 shown]
	v_mul_f64 v[114:115], v[108:109], s[26:27]
	v_accvgpr_write_b32 a47, v113
	v_fma_f64 v[112:113], s[16:17], v[170:171], v[112:113]
	v_add_f64 v[2:3], v[112:113], v[2:3]
	v_fma_f64 v[112:113], v[172:173], s[16:17], -v[114:115]
	s_mov_b32 s43, 0x3fc7851a
	s_mov_b32 s42, s36
	v_add_f64 v[4:5], v[112:113], v[4:5]
	v_mul_f64 v[112:113], v[110:111], s[42:43]
	v_accvgpr_write_b32 a50, v114
	v_accvgpr_write_b32 a56, v112
	;; [unrolled: 1-line block ×3, first 2 shown]
	v_mul_f64 v[114:115], v[108:109], s[42:43]
	v_accvgpr_write_b32 a57, v113
	v_fma_f64 v[112:113], s[22:23], v[170:171], v[112:113]
	v_add_f64 v[16:17], v[112:113], v[16:17]
	v_fma_f64 v[112:113], v[172:173], s[22:23], -v[114:115]
	v_add_f64 v[18:19], v[112:113], v[18:19]
	v_mul_f64 v[112:113], v[110:111], s[48:49]
	v_accvgpr_write_b32 a64, v114
	v_accvgpr_write_b32 a68, v112
	;; [unrolled: 1-line block ×3, first 2 shown]
	v_mul_f64 v[114:115], v[108:109], s[48:49]
	v_accvgpr_write_b32 a69, v113
	v_fma_f64 v[112:113], s[10:11], v[170:171], v[112:113]
	v_add_f64 v[104:105], v[112:113], v[104:105]
	v_fma_f64 v[112:113], v[172:173], s[10:11], -v[114:115]
	s_mov_b32 s43, 0x3fe58eea
	s_mov_b32 s42, s46
	v_add_f64 v[106:107], v[112:113], v[106:107]
	v_mul_f64 v[112:113], v[110:111], s[42:43]
	v_accvgpr_write_b32 a74, v114
	v_accvgpr_write_b32 a76, v112
	;; [unrolled: 1-line block ×3, first 2 shown]
	v_mul_f64 v[114:115], v[108:109], s[42:43]
	v_accvgpr_write_b32 a77, v113
	v_fma_f64 v[112:113], s[18:19], v[170:171], v[112:113]
	v_add_f64 v[6:7], v[112:113], v[6:7]
	v_fma_f64 v[112:113], v[172:173], s[18:19], -v[114:115]
	v_add_f64 v[8:9], v[112:113], v[8:9]
	v_mul_f64 v[112:113], v[110:111], s[38:39]
	v_accvgpr_write_b32 a78, v114
	v_accvgpr_write_b32 a82, v112
	;; [unrolled: 1-line block ×3, first 2 shown]
	v_mul_f64 v[114:115], v[108:109], s[38:39]
	v_accvgpr_write_b32 a83, v113
	v_fma_f64 v[112:113], s[0:1], v[170:171], v[112:113]
	v_add_f64 v[10:11], v[112:113], v[10:11]
	v_fma_f64 v[112:113], v[172:173], s[0:1], -v[114:115]
	v_accvgpr_write_b32 a84, v114
	v_add_f64 v[12:13], v[112:113], v[12:13]
	v_mul_f64 v[112:113], v[110:111], s[40:41]
	v_accvgpr_write_b32 a85, v115
	v_fma_f64 v[114:115], v[170:171], s[14:15], -v[112:113]
	v_add_f64 v[20:21], v[114:115], v[20:21]
	v_mul_f64 v[114:115], v[108:109], s[40:41]
	v_fmac_f64_e32 v[112:113], s[14:15], v[170:171]
	v_add_f64 v[56:57], v[112:113], v[56:57]
	v_fma_f64 v[112:113], v[172:173], s[14:15], -v[114:115]
	v_mul_f64 v[110:111], v[110:111], s[30:31]
	v_add_f64 v[58:59], v[112:113], v[58:59]
	v_fma_f64 v[112:113], v[170:171], s[20:21], -v[110:111]
	v_mul_f64 v[108:109], v[108:109], s[30:31]
	v_fmac_f64_e32 v[110:111], s[20:21], v[170:171]
	v_add_f64 v[96:97], v[112:113], v[96:97]
	v_fma_f64 v[112:113], s[20:21], v[172:173], v[108:109]
	v_add_f64 v[100:101], v[110:111], v[100:101]
	v_add_f64 v[110:111], v[42:43], -v[82:83]
	v_add_f64 v[98:99], v[112:113], v[98:99]
	v_fma_f64 v[108:109], v[172:173], s[20:21], -v[108:109]
	v_mul_f64 v[112:113], v[110:111], s[40:41]
	v_add_f64 v[22:23], v[26:27], v[22:23]
	v_add_f64 v[102:103], v[108:109], v[102:103]
	;; [unrolled: 1-line block ×3, first 2 shown]
	v_add_f64 v[108:109], v[40:41], -v[80:81]
	v_accvgpr_write_b32 a62, v112
	v_add_f64 v[22:23], v[116:117], v[22:23]
	v_fma_f64 v[116:117], s[14:15], v[172:173], v[114:115]
	v_add_f64 v[198:199], v[42:43], v[82:83]
	v_mul_f64 v[114:115], v[108:109], s[40:41]
	v_accvgpr_write_b32 a63, v113
	v_fma_f64 v[112:113], s[14:15], v[196:197], v[112:113]
	v_add_f64 v[14:15], v[112:113], v[14:15]
	v_fma_f64 v[112:113], v[198:199], s[14:15], -v[114:115]
	v_add_f64 v[0:1], v[112:113], v[0:1]
	v_mul_f64 v[112:113], v[110:111], s[36:37]
	v_accvgpr_write_b32 a66, v114
	v_accvgpr_write_b32 a70, v112
	v_accvgpr_write_b32 a67, v115
	v_mul_f64 v[114:115], v[108:109], s[36:37]
	v_accvgpr_write_b32 a71, v113
	v_fma_f64 v[112:113], s[22:23], v[196:197], v[112:113]
	v_add_f64 v[2:3], v[112:113], v[2:3]
	v_fma_f64 v[112:113], v[198:199], s[22:23], -v[114:115]
	v_add_f64 v[4:5], v[112:113], v[4:5]
	v_mul_f64 v[112:113], v[110:111], s[48:49]
	v_accvgpr_write_b32 a72, v114
	v_accvgpr_write_b32 a80, v112
	;; [unrolled: 1-line block ×3, first 2 shown]
	v_mul_f64 v[114:115], v[108:109], s[48:49]
	v_accvgpr_write_b32 a81, v113
	v_fma_f64 v[112:113], s[10:11], v[196:197], v[112:113]
	v_add_f64 v[16:17], v[112:113], v[16:17]
	v_fma_f64 v[112:113], v[198:199], s[10:11], -v[114:115]
	v_add_f64 v[18:19], v[112:113], v[18:19]
	v_mul_f64 v[112:113], v[110:111], s[44:45]
	v_accvgpr_write_b32 a92, v112
	v_mul_f64 v[218:219], v[108:109], s[44:45]
	v_accvgpr_write_b32 a93, v113
	v_fma_f64 v[112:113], s[0:1], v[196:197], v[112:113]
	v_add_f64 v[104:105], v[112:113], v[104:105]
	v_fma_f64 v[112:113], v[198:199], s[0:1], -v[218:219]
	v_mul_f64 v[222:223], v[110:111], s[34:35]
	v_add_f64 v[106:107], v[112:113], v[106:107]
	v_mul_f64 v[228:229], v[108:109], s[34:35]
	v_fma_f64 v[112:113], s[6:7], v[196:197], v[222:223]
	v_add_f64 v[6:7], v[112:113], v[6:7]
	v_fma_f64 v[112:113], v[198:199], s[6:7], -v[228:229]
	v_mul_f64 v[230:231], v[110:111], s[30:31]
	v_add_f64 v[8:9], v[112:113], v[8:9]
	v_mul_f64 v[234:235], v[108:109], s[30:31]
	v_fma_f64 v[112:113], s[20:21], v[196:197], v[230:231]
	v_add_f64 v[10:11], v[112:113], v[10:11]
	v_fma_f64 v[112:113], v[198:199], s[20:21], -v[234:235]
	s_mov_b32 s53, 0x3fe9895b
	s_mov_b32 s52, s26
	v_accvgpr_write_b32 a88, v114
	v_add_f64 v[12:13], v[112:113], v[12:13]
	v_mul_f64 v[112:113], v[110:111], s[52:53]
	v_accvgpr_write_b32 a89, v115
	v_fma_f64 v[114:115], v[196:197], s[16:17], -v[112:113]
	v_add_f64 v[20:21], v[114:115], v[20:21]
	v_mul_f64 v[114:115], v[108:109], s[52:53]
	v_fmac_f64_e32 v[112:113], s[16:17], v[196:197]
	v_add_f64 v[56:57], v[112:113], v[56:57]
	v_fma_f64 v[112:113], v[198:199], s[16:17], -v[114:115]
	v_mul_f64 v[110:111], v[110:111], s[42:43]
	v_add_f64 v[58:59], v[112:113], v[58:59]
	v_fma_f64 v[112:113], v[196:197], s[18:19], -v[110:111]
	v_mul_f64 v[108:109], v[108:109], s[42:43]
	v_fmac_f64_e32 v[110:111], s[18:19], v[196:197]
	v_add_f64 v[96:97], v[112:113], v[96:97]
	v_fma_f64 v[112:113], s[18:19], v[198:199], v[108:109]
	v_add_f64 v[100:101], v[110:111], v[100:101]
	v_add_f64 v[110:111], v[46:47], -v[78:79]
	v_add_f64 v[98:99], v[112:113], v[98:99]
	v_fma_f64 v[108:109], v[198:199], s[18:19], -v[108:109]
	v_mul_f64 v[112:113], v[110:111], s[24:25]
	v_add_f64 v[102:103], v[108:109], v[102:103]
	v_add_f64 v[224:225], v[44:45], v[76:77]
	v_add_f64 v[108:109], v[44:45], -v[76:77]
	v_accvgpr_write_b32 a86, v112
	v_add_f64 v[22:23], v[116:117], v[22:23]
	v_fma_f64 v[116:117], s[16:17], v[198:199], v[114:115]
	v_add_f64 v[226:227], v[46:47], v[78:79]
	v_mul_f64 v[114:115], v[108:109], s[24:25]
	v_accvgpr_write_b32 a87, v113
	v_fma_f64 v[112:113], s[10:11], v[224:225], v[112:113]
	v_add_f64 v[14:15], v[112:113], v[14:15]
	v_fma_f64 v[112:113], v[226:227], s[10:11], -v[114:115]
	v_mul_f64 v[216:217], v[110:111], s[50:51]
	v_add_f64 v[0:1], v[112:113], v[0:1]
	v_mul_f64 v[220:221], v[108:109], s[50:51]
	v_fma_f64 v[112:113], s[20:21], v[224:225], v[216:217]
	v_add_f64 v[2:3], v[112:113], v[2:3]
	v_fma_f64 v[112:113], v[226:227], s[20:21], -v[220:221]
	v_mul_f64 v[232:233], v[110:111], s[42:43]
	v_add_f64 v[4:5], v[112:113], v[4:5]
	v_mul_f64 v[238:239], v[108:109], s[42:43]
	;; [unrolled: 6-line block ×4, first 2 shown]
	v_fma_f64 v[112:113], s[22:23], v[224:225], v[254:255]
	s_mov_b32 s35, 0x3fefdd0d
	s_mov_b32 s34, s40
	v_add_f64 v[6:7], v[112:113], v[6:7]
	v_fma_f64 v[112:113], v[226:227], s[22:23], -v[120:121]
	v_mul_f64 v[122:123], v[110:111], s[34:35]
	v_add_f64 v[8:9], v[112:113], v[8:9]
	v_mul_f64 v[126:127], v[108:109], s[34:35]
	v_fma_f64 v[112:113], s[14:15], v[224:225], v[122:123]
	v_add_f64 v[10:11], v[112:113], v[10:11]
	v_fma_f64 v[112:113], v[226:227], s[14:15], -v[126:127]
	v_accvgpr_write_b32 a90, v114
	v_add_f64 v[12:13], v[112:113], v[12:13]
	v_mul_f64 v[112:113], v[110:111], s[38:39]
	v_accvgpr_write_b32 a91, v115
	v_fma_f64 v[114:115], v[224:225], s[0:1], -v[112:113]
	v_add_f64 v[20:21], v[114:115], v[20:21]
	v_mul_f64 v[114:115], v[108:109], s[38:39]
	v_fmac_f64_e32 v[112:113], s[0:1], v[224:225]
	v_add_f64 v[56:57], v[112:113], v[56:57]
	v_fma_f64 v[112:113], v[226:227], s[0:1], -v[114:115]
	v_mul_f64 v[110:111], v[110:111], s[26:27]
	v_add_f64 v[58:59], v[112:113], v[58:59]
	v_fma_f64 v[112:113], v[224:225], s[16:17], -v[110:111]
	v_mul_f64 v[108:109], v[108:109], s[26:27]
	v_add_f64 v[134:135], v[50:51], -v[74:75]
	v_add_f64 v[96:97], v[112:113], v[96:97]
	v_fma_f64 v[112:113], s[16:17], v[226:227], v[108:109]
	v_fma_f64 v[108:109], v[226:227], s[16:17], -v[108:109]
	v_add_f64 v[250:251], v[48:49], v[72:73]
	v_add_f64 v[128:129], v[48:49], -v[72:73]
	v_mul_f64 v[236:237], v[134:135], s[26:27]
	v_add_f64 v[102:103], v[108:109], v[102:103]
	v_add_f64 v[252:253], v[50:51], v[74:75]
	v_mul_f64 v[240:241], v[128:129], s[26:27]
	v_fma_f64 v[108:109], s[16:17], v[250:251], v[236:237]
	v_add_f64 v[14:15], v[108:109], v[14:15]
	v_fma_f64 v[108:109], v[252:253], s[16:17], -v[240:241]
	v_mul_f64 v[244:245], v[134:135], s[48:49]
	v_add_f64 v[0:1], v[108:109], v[0:1]
	v_mul_f64 v[248:249], v[128:129], s[48:49]
	v_fma_f64 v[108:109], s[10:11], v[250:251], v[244:245]
	v_add_f64 v[2:3], v[108:109], v[2:3]
	v_fma_f64 v[108:109], v[252:253], s[10:11], -v[248:249]
	v_mul_f64 v[124:125], v[134:135], s[38:39]
	v_add_f64 v[22:23], v[116:117], v[22:23]
	v_fma_f64 v[116:117], s[0:1], v[226:227], v[114:115]
	v_add_f64 v[4:5], v[108:109], v[4:5]
	v_mul_f64 v[136:137], v[128:129], s[38:39]
	v_fma_f64 v[108:109], s[0:1], v[250:251], v[124:125]
	v_add_f64 v[22:23], v[116:117], v[22:23]
	v_add_f64 v[16:17], v[108:109], v[16:17]
	v_fma_f64 v[108:109], v[252:253], s[0:1], -v[136:137]
	v_mul_f64 v[116:117], v[134:135], s[30:31]
	v_add_f64 v[18:19], v[108:109], v[18:19]
	v_mul_f64 v[118:119], v[128:129], s[30:31]
	v_fma_f64 v[108:109], s[20:21], v[250:251], v[116:117]
	v_add_f64 v[98:99], v[112:113], v[98:99]
	v_add_f64 v[104:105], v[108:109], v[104:105]
	v_fma_f64 v[108:109], v[252:253], s[20:21], -v[118:119]
	v_mul_f64 v[112:113], v[134:135], s[34:35]
	v_add_f64 v[106:107], v[108:109], v[106:107]
	v_mul_f64 v[114:115], v[128:129], s[34:35]
	v_fma_f64 v[108:109], s[14:15], v[250:251], v[112:113]
	v_add_f64 v[6:7], v[108:109], v[6:7]
	v_fma_f64 v[108:109], v[252:253], s[14:15], -v[114:115]
	v_fmac_f64_e32 v[110:111], s[16:17], v[224:225]
	v_add_f64 v[154:155], v[108:109], v[8:9]
	v_mul_f64 v[108:109], v[134:135], s[46:47]
	v_add_f64 v[100:101], v[110:111], v[100:101]
	v_mul_f64 v[110:111], v[128:129], s[46:47]
	v_fma_f64 v[8:9], s[18:19], v[250:251], v[108:109]
	v_add_f64 v[156:157], v[8:9], v[10:11]
	v_fma_f64 v[8:9], v[252:253], s[18:19], -v[110:111]
	v_add_f64 v[162:163], v[8:9], v[12:13]
	v_mul_f64 v[8:9], v[134:135], s[36:37]
	v_fma_f64 v[10:11], v[250:251], s[22:23], -v[8:9]
	v_add_f64 v[164:165], v[10:11], v[20:21]
	v_mul_f64 v[10:11], v[128:129], s[36:37]
	v_fmac_f64_e32 v[8:9], s[22:23], v[250:251]
	v_add_f64 v[176:177], v[8:9], v[56:57]
	v_fma_f64 v[8:9], v[252:253], s[22:23], -v[10:11]
	v_add_f64 v[184:185], v[8:9], v[58:59]
	v_mul_f64 v[8:9], v[134:135], s[28:29]
	v_fma_f64 v[12:13], s[22:23], v[252:253], v[10:11]
	v_fma_f64 v[10:11], v[250:251], s[6:7], -v[8:9]
	v_add_f64 v[186:187], v[10:11], v[96:97]
	v_mul_f64 v[10:11], v[128:129], s[28:29]
	v_fmac_f64_e32 v[8:9], s[6:7], v[250:251]
	v_add_f64 v[190:191], v[8:9], v[100:101]
	v_fma_f64 v[8:9], v[252:253], s[6:7], -v[10:11]
	v_add_f64 v[100:101], v[54:55], -v[70:71]
	v_add_f64 v[192:193], v[8:9], v[102:103]
	v_add_f64 v[142:143], v[52:53], v[68:69]
	v_add_f64 v[102:103], v[52:53], -v[68:69]
	v_mul_f64 v[128:129], v[100:101], s[30:31]
	v_add_f64 v[146:147], v[54:55], v[70:71]
	v_mul_f64 v[134:135], v[102:103], s[30:31]
	v_fma_f64 v[8:9], s[20:21], v[142:143], v[128:129]
	v_add_f64 v[200:201], v[8:9], v[14:15]
	v_fma_f64 v[8:9], v[146:147], s[20:21], -v[134:135]
	v_mul_f64 v[138:139], v[100:101], s[28:29]
	v_add_f64 v[202:203], v[8:9], v[0:1]
	v_mul_f64 v[140:141], v[102:103], s[28:29]
	v_fma_f64 v[0:1], s[6:7], v[142:143], v[138:139]
	v_add_f64 v[204:205], v[0:1], v[2:3]
	v_fma_f64 v[0:1], v[146:147], s[6:7], -v[140:141]
	;; [unrolled: 6-line block ×3, first 2 shown]
	v_mul_f64 v[160:161], v[100:101], s[52:53]
	v_add_f64 v[168:169], v[12:13], v[22:23]
	v_fma_f64 v[12:13], s[6:7], v[252:253], v[10:11]
	v_add_f64 v[10:11], v[0:1], v[18:19]
	v_mul_f64 v[166:167], v[102:103], s[52:53]
	v_fma_f64 v[0:1], s[16:17], v[142:143], v[160:161]
	v_add_f64 v[188:189], v[12:13], v[98:99]
	v_add_f64 v[12:13], v[0:1], v[104:105]
	v_fma_f64 v[0:1], v[146:147], s[16:17], -v[166:167]
	v_mul_f64 v[174:175], v[100:101], s[38:39]
	v_add_f64 v[14:15], v[0:1], v[106:107]
	v_mul_f64 v[178:179], v[102:103], s[38:39]
	v_fma_f64 v[0:1], s[0:1], v[142:143], v[174:175]
	v_add_f64 v[16:17], v[0:1], v[6:7]
	v_fma_f64 v[0:1], v[146:147], s[0:1], -v[178:179]
	v_mul_f64 v[180:181], v[100:101], s[36:37]
	v_add_f64 v[18:19], v[0:1], v[154:155]
	v_mul_f64 v[182:183], v[102:103], s[36:37]
	v_fma_f64 v[0:1], s[22:23], v[142:143], v[180:181]
	v_add_f64 v[20:21], v[0:1], v[156:157]
	v_fma_f64 v[0:1], v[146:147], s[22:23], -v[182:183]
	v_add_f64 v[22:23], v[0:1], v[162:163]
	v_mul_f64 v[0:1], v[100:101], s[42:43]
	v_fma_f64 v[2:3], v[142:143], s[18:19], -v[0:1]
	v_add_f64 v[56:57], v[2:3], v[164:165]
	v_mul_f64 v[2:3], v[102:103], s[42:43]
	v_fmac_f64_e32 v[0:1], s[18:19], v[142:143]
	v_add_f64 v[96:97], v[0:1], v[176:177]
	v_fma_f64 v[0:1], v[146:147], s[18:19], -v[2:3]
	v_add_f64 v[98:99], v[0:1], v[184:185]
	v_mul_f64 v[0:1], v[100:101], s[24:25]
	v_fma_f64 v[4:5], s[18:19], v[146:147], v[2:3]
	v_fma_f64 v[2:3], v[142:143], s[10:11], -v[0:1]
	v_add_f64 v[100:101], v[2:3], v[186:187]
	v_mul_f64 v[2:3], v[102:103], s[24:25]
	v_fmac_f64_e32 v[0:1], s[10:11], v[142:143]
	v_add_f64 v[104:105], v[0:1], v[190:191]
	v_fma_f64 v[0:1], v[146:147], s[10:11], -v[2:3]
	v_add_f64 v[194:195], v[62:63], -v[66:67]
	v_add_f64 v[58:59], v[4:5], v[168:169]
	v_fma_f64 v[4:5], s[10:11], v[146:147], v[2:3]
	v_add_f64 v[106:107], v[0:1], v[192:193]
	v_add_f64 v[162:163], v[60:61], v[64:65]
	v_add_f64 v[192:193], v[60:61], -v[64:65]
	v_mul_f64 v[184:185], v[194:195], s[30:31]
	v_add_f64 v[102:103], v[4:5], v[188:189]
	v_add_f64 v[164:165], v[62:63], v[66:67]
	v_mul_f64 v[186:187], v[192:193], s[30:31]
	v_fma_f64 v[188:189], s[20:21], v[162:163], v[184:185]
	v_mul_f64 v[154:155], v[194:195], s[36:37]
	v_add_f64 v[8:9], v[188:189], v[8:9]
	v_fma_f64 v[188:189], v[164:165], s[20:21], -v[186:187]
	v_fma_f64 v[0:1], s[22:23], v[162:163], v[154:155]
	v_add_f64 v[10:11], v[188:189], v[10:11]
	v_mul_f64 v[188:189], v[194:195], s[42:43]
	v_add_f64 v[0:1], v[0:1], v[200:201]
	v_mul_f64 v[190:191], v[192:193], s[42:43]
	v_fma_f64 v[200:201], s[18:19], v[162:163], v[188:189]
	v_mul_f64 v[156:157], v[192:193], s[36:37]
	v_mul_f64 v[168:169], v[194:195], s[44:45]
	v_add_f64 v[12:13], v[200:201], v[12:13]
	v_fma_f64 v[200:201], v[164:165], s[18:19], -v[190:191]
	v_fma_f64 v[2:3], v[164:165], s[22:23], -v[156:157]
	v_fma_f64 v[4:5], s[0:1], v[162:163], v[168:169]
	v_add_f64 v[14:15], v[200:201], v[14:15]
	v_mul_f64 v[200:201], v[194:195], s[26:27]
	v_add_f64 v[2:3], v[2:3], v[202:203]
	v_add_f64 v[4:5], v[4:5], v[204:205]
	v_mul_f64 v[202:203], v[192:193], s[26:27]
	v_fma_f64 v[204:205], s[16:17], v[162:163], v[200:201]
	v_mul_f64 v[176:177], v[192:193], s[44:45]
	v_add_f64 v[16:17], v[204:205], v[16:17]
	v_fma_f64 v[204:205], v[164:165], s[16:17], -v[202:203]
	v_fma_f64 v[6:7], v[164:165], s[0:1], -v[176:177]
	v_add_f64 v[18:19], v[204:205], v[18:19]
	v_mul_f64 v[204:205], v[194:195], s[28:29]
	v_add_f64 v[6:7], v[6:7], v[206:207]
	v_mul_f64 v[206:207], v[192:193], s[28:29]
	v_fma_f64 v[208:209], s[6:7], v[162:163], v[204:205]
	v_add_f64 v[20:21], v[208:209], v[20:21]
	v_fma_f64 v[208:209], v[164:165], s[6:7], -v[206:207]
	v_add_f64 v[22:23], v[208:209], v[22:23]
	v_mul_f64 v[208:209], v[194:195], s[24:25]
	v_fma_f64 v[212:213], v[162:163], s[10:11], -v[208:209]
	v_add_f64 v[56:57], v[212:213], v[56:57]
	v_mul_f64 v[212:213], v[192:193], s[24:25]
	v_fmac_f64_e32 v[208:209], s[10:11], v[162:163]
	v_add_f64 v[96:97], v[208:209], v[96:97]
	v_fma_f64 v[208:209], v[164:165], s[10:11], -v[212:213]
	v_mul_f64 v[194:195], v[194:195], s[34:35]
	v_add_f64 v[98:99], v[208:209], v[98:99]
	v_fma_f64 v[208:209], v[162:163], s[14:15], -v[194:195]
	v_mul_f64 v[192:193], v[192:193], s[34:35]
	v_add_f64 v[100:101], v[208:209], v[100:101]
	v_fma_f64 v[208:209], s[14:15], v[164:165], v[192:193]
	v_fma_f64 v[192:193], v[164:165], s[14:15], -v[192:193]
	v_fma_f64 v[214:215], s[10:11], v[164:165], v[212:213]
	v_fmac_f64_e32 v[194:195], s[14:15], v[162:163]
	v_add_f64 v[106:107], v[192:193], v[106:107]
	v_mul_lo_u16_e32 v192, 17, v144
	v_add_f64 v[58:59], v[214:215], v[58:59]
	v_add_f64 v[102:103], v[208:209], v[102:103]
	;; [unrolled: 1-line block ×3, first 2 shown]
	v_accvgpr_write_b32 a3, v192
	s_barrier
	s_and_saveexec_b64 s[24:25], vcc
	s_cbranch_execz .LBB0_7
; %bb.6:
	v_mul_f64 v[192:193], v[164:165], s[6:7]
	v_accvgpr_read_b32 v209, a85
	v_add_f64 v[192:193], v[206:207], v[192:193]
	v_mul_f64 v[206:207], v[172:173], s[0:1]
	v_accvgpr_read_b32 v208, a84
	v_accvgpr_read_b32 v213, a61
	v_add_f64 v[206:207], v[208:209], v[206:207]
	v_mul_f64 v[208:209], v[150:151], s[10:11]
	v_accvgpr_read_b32 v212, a60
	v_accvgpr_read_b32 v215, a35
	v_mul_f64 v[194:195], v[146:147], s[22:23]
	v_add_f64 v[208:209], v[212:213], v[208:209]
	v_mul_f64 v[212:213], v[132:133], s[16:17]
	v_accvgpr_read_b32 v214, a34
	v_add_f64 v[182:183], v[182:183], v[194:195]
	v_mul_f64 v[194:195], v[252:253], s[18:19]
	v_add_f64 v[212:213], v[214:215], v[212:213]
	v_add_f64 v[110:111], v[110:111], v[194:195]
	v_mul_f64 v[194:195], v[226:227], s[14:15]
	v_add_f64 v[212:213], v[26:27], v[212:213]
	;; [unrolled: 3-line block ×3, first 2 shown]
	v_add_f64 v[194:195], v[234:235], v[194:195]
	v_add_f64 v[206:207], v[206:207], v[208:209]
	;; [unrolled: 1-line block ×5, first 2 shown]
	v_mul_f64 v[126:127], v[162:163], s[6:7]
	v_add_f64 v[126:127], v[126:127], -v[204:205]
	v_accvgpr_read_b32 v205, a83
	v_mul_f64 v[194:195], v[170:171], s[0:1]
	v_accvgpr_read_b32 v204, a82
	v_accvgpr_read_b32 v207, a59
	v_add_f64 v[194:195], v[194:195], -v[204:205]
	v_mul_f64 v[204:205], v[148:149], s[10:11]
	v_accvgpr_read_b32 v206, a58
	v_accvgpr_read_b32 v209, a33
	v_add_f64 v[110:111], v[182:183], v[110:111]
	v_mul_f64 v[182:183], v[142:143], s[22:23]
	v_add_f64 v[204:205], v[204:205], -v[206:207]
	v_mul_f64 v[206:207], v[130:131], s[16:17]
	v_accvgpr_read_b32 v208, a32
	v_add_f64 v[180:181], v[182:183], -v[180:181]
	v_mul_f64 v[182:183], v[250:251], s[18:19]
	v_add_f64 v[206:207], v[206:207], -v[208:209]
	v_add_f64 v[108:109], v[182:183], -v[108:109]
	v_mul_f64 v[182:183], v[224:225], s[14:15]
	v_add_f64 v[206:207], v[24:25], v[206:207]
	v_add_f64 v[122:123], v[182:183], -v[122:123]
	v_mul_f64 v[182:183], v[196:197], s[20:21]
	v_add_f64 v[204:205], v[204:205], v[206:207]
	v_add_f64 v[182:183], v[182:183], -v[230:231]
	v_add_f64 v[194:195], v[194:195], v[204:205]
	v_add_f64 v[182:183], v[182:183], v[194:195]
	v_add_f64 v[122:123], v[122:123], v[182:183]
	v_add_f64 v[108:109], v[108:109], v[122:123]
	v_accvgpr_read_b32 v183, a79
	v_add_f64 v[108:109], v[180:181], v[108:109]
	v_add_f64 v[110:111], v[192:193], v[110:111]
	v_mul_f64 v[180:181], v[172:173], s[18:19]
	v_accvgpr_read_b32 v182, a78
	v_accvgpr_read_b32 v193, a55
	v_add_f64 v[180:181], v[182:183], v[180:181]
	v_mul_f64 v[182:183], v[150:151], s[20:21]
	v_accvgpr_read_b32 v192, a54
	v_accvgpr_read_b32 v195, a31
	v_add_f64 v[108:109], v[126:127], v[108:109]
	v_mul_f64 v[126:127], v[146:147], s[0:1]
	v_add_f64 v[182:183], v[192:193], v[182:183]
	v_mul_f64 v[192:193], v[132:133], s[10:11]
	v_accvgpr_read_b32 v194, a30
	v_add_f64 v[126:127], v[178:179], v[126:127]
	v_mul_f64 v[178:179], v[252:253], s[14:15]
	v_add_f64 v[192:193], v[194:195], v[192:193]
	v_add_f64 v[114:115], v[114:115], v[178:179]
	v_mul_f64 v[178:179], v[226:227], s[22:23]
	v_add_f64 v[192:193], v[26:27], v[192:193]
	;; [unrolled: 3-line block ×3, first 2 shown]
	v_add_f64 v[178:179], v[228:229], v[178:179]
	v_add_f64 v[180:181], v[180:181], v[182:183]
	v_accvgpr_read_b32 v183, a77
	v_add_f64 v[178:179], v[178:179], v[180:181]
	v_mul_f64 v[180:181], v[170:171], s[18:19]
	v_accvgpr_read_b32 v182, a76
	v_accvgpr_read_b32 v193, a53
	v_add_f64 v[180:181], v[180:181], -v[182:183]
	v_mul_f64 v[182:183], v[148:149], s[20:21]
	v_accvgpr_read_b32 v192, a52
	v_accvgpr_read_b32 v195, a25
	v_add_f64 v[120:121], v[120:121], v[178:179]
	v_add_f64 v[182:183], v[182:183], -v[192:193]
	v_mul_f64 v[192:193], v[130:131], s[10:11]
	v_accvgpr_read_b32 v194, a24
	v_add_f64 v[114:115], v[114:115], v[120:121]
	v_add_f64 v[192:193], v[192:193], -v[194:195]
	v_add_f64 v[114:115], v[126:127], v[114:115]
	v_mul_f64 v[126:127], v[142:143], s[0:1]
	v_add_f64 v[192:193], v[24:25], v[192:193]
	v_add_f64 v[126:127], v[126:127], -v[174:175]
	v_mul_f64 v[174:175], v[250:251], s[14:15]
	v_mul_f64 v[178:179], v[196:197], s[6:7]
	v_add_f64 v[182:183], v[182:183], v[192:193]
	v_add_f64 v[112:113], v[174:175], -v[112:113]
	v_mul_f64 v[174:175], v[224:225], s[22:23]
	v_add_f64 v[178:179], v[178:179], -v[222:223]
	v_add_f64 v[180:181], v[180:181], v[182:183]
	v_add_f64 v[174:175], v[174:175], -v[254:255]
	v_add_f64 v[178:179], v[178:179], v[180:181]
	v_add_f64 v[174:175], v[174:175], v[178:179]
	v_accvgpr_read_b32 v179, a75
	v_add_f64 v[112:113], v[112:113], v[174:175]
	v_mul_f64 v[174:175], v[172:173], s[10:11]
	v_accvgpr_read_b32 v178, a74
	v_accvgpr_read_b32 v181, a49
	v_add_f64 v[174:175], v[178:179], v[174:175]
	v_mul_f64 v[178:179], v[150:151], s[22:23]
	v_accvgpr_read_b32 v180, a48
	v_accvgpr_read_b32 v183, a21
	v_mul_f64 v[122:123], v[164:165], s[16:17]
	v_add_f64 v[178:179], v[180:181], v[178:179]
	v_mul_f64 v[180:181], v[132:133], s[14:15]
	v_accvgpr_read_b32 v182, a20
	v_add_f64 v[122:123], v[202:203], v[122:123]
	v_add_f64 v[180:181], v[182:183], v[180:181]
	;; [unrolled: 1-line block ×3, first 2 shown]
	v_mul_f64 v[122:123], v[146:147], s[16:17]
	v_add_f64 v[180:181], v[26:27], v[180:181]
	v_add_f64 v[112:113], v[126:127], v[112:113]
	;; [unrolled: 1-line block ×3, first 2 shown]
	v_mul_f64 v[126:127], v[252:253], s[20:21]
	v_mul_f64 v[166:167], v[198:199], s[0:1]
	v_add_f64 v[178:179], v[178:179], v[180:181]
	v_add_f64 v[118:119], v[118:119], v[126:127]
	v_mul_f64 v[126:127], v[226:227], s[6:7]
	v_add_f64 v[166:167], v[218:219], v[166:167]
	v_add_f64 v[174:175], v[174:175], v[178:179]
	;; [unrolled: 1-line block ×4, first 2 shown]
	v_accvgpr_read_b32 v175, a93
	v_add_f64 v[126:127], v[126:127], v[166:167]
	v_mul_f64 v[166:167], v[196:197], s[0:1]
	v_accvgpr_read_b32 v174, a92
	v_accvgpr_read_b32 v179, a69
	v_add_f64 v[166:167], v[166:167], -v[174:175]
	v_mul_f64 v[174:175], v[170:171], s[10:11]
	v_accvgpr_read_b32 v178, a68
	v_accvgpr_read_b32 v181, a45
	v_add_f64 v[174:175], v[174:175], -v[178:179]
	;; [unrolled: 4-line block ×3, first 2 shown]
	v_mul_f64 v[180:181], v[130:131], s[14:15]
	v_accvgpr_read_b32 v182, a16
	v_add_f64 v[180:181], v[180:181], -v[182:183]
	v_add_f64 v[118:119], v[118:119], v[126:127]
	v_mul_f64 v[126:127], v[142:143], s[16:17]
	v_add_f64 v[180:181], v[24:25], v[180:181]
	v_add_f64 v[126:127], v[126:127], -v[160:161]
	v_mul_f64 v[160:161], v[250:251], s[20:21]
	v_add_f64 v[178:179], v[178:179], v[180:181]
	v_add_f64 v[116:117], v[160:161], -v[116:117]
	;; [unrolled: 3-line block ×3, first 2 shown]
	v_add_f64 v[166:167], v[166:167], v[174:175]
	v_add_f64 v[160:161], v[160:161], v[166:167]
	;; [unrolled: 1-line block ×3, first 2 shown]
	v_mul_f64 v[122:123], v[162:163], s[18:19]
	v_add_f64 v[116:117], v[116:117], v[160:161]
	v_add_f64 v[122:123], v[122:123], -v[188:189]
	v_add_f64 v[116:117], v[126:127], v[116:117]
	v_add_f64 v[116:117], v[122:123], v[116:117]
	v_mul_f64 v[122:123], v[146:147], s[14:15]
	v_accvgpr_read_b32 v161, a89
	v_add_f64 v[122:123], v[158:159], v[122:123]
	v_mul_f64 v[158:159], v[198:199], s[10:11]
	v_accvgpr_read_b32 v160, a88
	v_accvgpr_read_b32 v167, a65
	v_add_f64 v[158:159], v[160:161], v[158:159]
	v_mul_f64 v[160:161], v[172:173], s[22:23]
	v_accvgpr_read_b32 v166, a64
	v_accvgpr_read_b32 v175, a39
	v_add_f64 v[160:161], v[166:167], v[160:161]
	v_mul_f64 v[166:167], v[150:151], s[16:17]
	v_accvgpr_read_b32 v174, a38
	v_accvgpr_read_b32 v179, a15
	v_add_f64 v[166:167], v[174:175], v[166:167]
	v_mul_f64 v[174:175], v[132:133], s[6:7]
	v_accvgpr_read_b32 v178, a14
	v_add_f64 v[174:175], v[178:179], v[174:175]
	v_add_f64 v[174:175], v[26:27], v[174:175]
	v_mul_f64 v[126:127], v[252:253], s[0:1]
	v_add_f64 v[166:167], v[166:167], v[174:175]
	v_add_f64 v[126:127], v[136:137], v[126:127]
	v_mul_f64 v[136:137], v[226:227], s[18:19]
	v_add_f64 v[160:161], v[160:161], v[166:167]
	v_mul_f64 v[120:121], v[162:163], s[16:17]
	v_add_f64 v[136:137], v[238:239], v[136:137]
	v_add_f64 v[158:159], v[158:159], v[160:161]
	v_add_f64 v[120:121], v[120:121], -v[200:201]
	v_add_f64 v[136:137], v[136:137], v[158:159]
	v_add_f64 v[112:113], v[120:121], v[112:113]
	v_mul_f64 v[120:121], v[164:165], s[18:19]
	v_add_f64 v[126:127], v[126:127], v[136:137]
	v_add_f64 v[120:121], v[190:191], v[120:121]
	;; [unrolled: 1-line block ×3, first 2 shown]
	v_mul_f64 v[126:127], v[162:163], s[20:21]
	v_accvgpr_read_b32 v191, a13
	v_add_f64 v[118:119], v[120:121], v[118:119]
	v_mul_f64 v[120:121], v[164:165], s[20:21]
	v_mul_f64 v[178:179], v[130:131], s[0:1]
	;; [unrolled: 1-line block ×4, first 2 shown]
	v_add_f64 v[126:127], v[126:127], -v[184:185]
	v_accvgpr_read_b32 v185, a81
	v_accvgpr_read_b32 v189, a37
	;; [unrolled: 1-line block ×3, first 2 shown]
	v_add_f64 v[120:121], v[186:187], v[120:121]
	v_mul_f64 v[160:161], v[148:149], s[18:19]
	v_mul_f64 v[136:137], v[148:149], s[14:15]
	;; [unrolled: 1-line block ×4, first 2 shown]
	v_accvgpr_read_b32 v184, a80
	v_accvgpr_read_b32 v187, a57
	;; [unrolled: 1-line block ×3, first 2 shown]
	v_add_f64 v[130:131], v[130:131], -v[190:191]
	v_mul_f64 v[180:181], v[142:143], s[14:15]
	v_add_f64 v[182:183], v[182:183], -v[184:185]
	v_mul_f64 v[184:185], v[170:171], s[22:23]
	v_accvgpr_read_b32 v186, a56
	v_add_f64 v[148:149], v[148:149], -v[188:189]
	v_add_f64 v[130:131], v[24:25], v[130:131]
	v_add_f64 v[152:153], v[180:181], -v[152:153]
	v_mul_f64 v[180:181], v[250:251], s[0:1]
	v_add_f64 v[184:185], v[184:185], -v[186:187]
	v_add_f64 v[130:131], v[148:149], v[130:131]
	v_add_f64 v[124:125], v[180:181], -v[124:125]
	v_mul_f64 v[180:181], v[224:225], s[18:19]
	v_add_f64 v[130:131], v[184:185], v[130:131]
	v_add_f64 v[180:181], v[180:181], -v[232:233]
	v_add_f64 v[130:131], v[182:183], v[130:131]
	v_add_f64 v[130:131], v[180:181], v[130:131]
	;; [unrolled: 1-line block ×4, first 2 shown]
	v_mul_f64 v[148:149], v[198:199], s[14:15]
	v_mul_f64 v[194:195], v[198:199], s[22:23]
	;; [unrolled: 1-line block ×4, first 2 shown]
	v_add_f64 v[122:123], v[120:121], v[122:123]
	v_add_f64 v[120:121], v[126:127], v[124:125]
	v_mul_f64 v[124:125], v[142:143], s[6:7]
	v_mul_f64 v[142:143], v[164:165], s[0:1]
	v_add_f64 v[142:143], v[176:177], v[142:143]
	v_add_f64 v[176:177], v[220:221], v[198:199]
	v_accvgpr_read_b32 v199, a73
	v_accvgpr_read_b32 v198, a72
	v_add_f64 v[194:195], v[198:199], v[194:195]
	v_accvgpr_read_b32 v199, a51
	v_mul_f64 v[188:189], v[172:173], s[6:7]
	v_mul_f64 v[172:173], v[172:173], s[16:17]
	v_accvgpr_read_b32 v198, a50
	v_add_f64 v[172:173], v[198:199], v[172:173]
	v_accvgpr_read_b32 v199, a29
	v_mul_f64 v[158:159], v[150:151], s[18:19]
	v_mul_f64 v[150:151], v[150:151], s[14:15]
	;; [unrolled: 5-line block ×3, first 2 shown]
	v_accvgpr_read_b32 v198, a10
	v_add_f64 v[132:133], v[198:199], v[132:133]
	v_add_f64 v[132:133], v[26:27], v[132:133]
	;; [unrolled: 1-line block ×4, first 2 shown]
	v_mul_f64 v[202:203], v[252:253], s[10:11]
	v_mul_f64 v[126:127], v[146:147], s[6:7]
	v_add_f64 v[132:133], v[194:195], v[132:133]
	v_add_f64 v[126:127], v[140:141], v[126:127]
	;; [unrolled: 1-line block ×4, first 2 shown]
	v_mul_f64 v[204:205], v[146:147], s[20:21]
	v_mul_f64 v[146:147], v[162:163], s[22:23]
	v_mul_f64 v[162:163], v[162:163], s[0:1]
	v_add_f64 v[132:133], v[140:141], v[132:133]
	v_add_f64 v[126:127], v[126:127], v[132:133]
	v_add_f64 v[132:133], v[162:163], -v[168:169]
	v_accvgpr_read_b32 v163, a27
	v_accvgpr_read_b32 v162, a26
	v_add_f64 v[136:137], v[136:137], -v[162:163]
	v_accvgpr_read_b32 v163, a9
	v_accvgpr_read_b32 v162, a8
	;; [unrolled: 1-line block ×3, first 2 shown]
	v_add_f64 v[162:163], v[166:167], -v[162:163]
	v_mul_f64 v[186:187], v[170:171], s[6:7]
	v_mul_f64 v[170:171], v[170:171], s[16:17]
	v_add_f64 v[126:127], v[142:143], v[126:127]
	v_accvgpr_read_b32 v143, a71
	v_accvgpr_read_b32 v150, a46
	v_add_f64 v[162:163], v[24:25], v[162:163]
	v_mul_f64 v[192:193], v[196:197], s[22:23]
	v_accvgpr_read_b32 v142, a70
	v_add_f64 v[150:151], v[170:171], -v[150:151]
	v_add_f64 v[136:137], v[136:137], v[162:163]
	v_mul_f64 v[190:191], v[196:197], s[14:15]
	v_mul_f64 v[196:197], v[224:225], s[20:21]
	v_add_f64 v[142:143], v[192:193], -v[142:143]
	v_add_f64 v[136:137], v[150:151], v[136:137]
	v_mul_f64 v[200:201], v[250:251], s[10:11]
	v_add_f64 v[140:141], v[196:197], -v[216:217]
	v_add_f64 v[136:137], v[142:143], v[136:137]
	v_add_f64 v[124:125], v[124:125], -v[138:139]
	v_add_f64 v[138:139], v[200:201], -v[244:245]
	v_add_f64 v[136:137], v[140:141], v[136:137]
	v_add_f64 v[136:137], v[138:139], v[136:137]
	v_accvgpr_read_b32 v139, a67
	v_accvgpr_read_b32 v138, a66
	v_add_f64 v[138:139], v[138:139], v[148:149]
	v_accvgpr_read_b32 v149, a7
	v_accvgpr_read_b32 v143, a23
	v_accvgpr_read_b32 v148, a6
	v_accvgpr_read_b32 v141, a43
	v_accvgpr_read_b32 v142, a22
	v_add_f64 v[148:149], v[148:149], v[174:175]
	v_accvgpr_read_b32 v140, a42
	v_add_f64 v[142:143], v[142:143], v[158:159]
	v_add_f64 v[148:149], v[26:27], v[148:149]
	;; [unrolled: 1-line block ×3, first 2 shown]
	v_accvgpr_read_b32 v137, a91
	v_add_f64 v[140:141], v[140:141], v[188:189]
	v_add_f64 v[142:143], v[142:143], v[148:149]
	v_mul_f64 v[182:183], v[226:227], s[10:11]
	v_accvgpr_read_b32 v136, a90
	v_add_f64 v[140:141], v[140:141], v[142:143]
	v_mul_f64 v[130:131], v[252:253], s[16:17]
	v_add_f64 v[136:137], v[136:137], v[182:183]
	v_add_f64 v[138:139], v[138:139], v[140:141]
	;; [unrolled: 1-line block ×4, first 2 shown]
	v_mul_f64 v[164:165], v[164:165], s[22:23]
	v_add_f64 v[134:135], v[134:135], v[204:205]
	v_add_f64 v[130:131], v[130:131], v[136:137]
	;; [unrolled: 1-line block ×6, first 2 shown]
	v_add_f64 v[132:133], v[146:147], -v[154:155]
	v_accvgpr_read_b32 v147, a5
	v_accvgpr_read_b32 v146, a4
	v_add_f64 v[146:147], v[178:179], -v[146:147]
	v_add_f64 v[146:147], v[24:25], v[146:147]
	v_add_f64 v[26:27], v[30:31], v[26:27]
	;; [unrolled: 1-line block ×15, first 2 shown]
	v_accvgpr_read_b32 v143, a19
	v_add_f64 v[26:27], v[26:27], v[62:63]
	v_add_f64 v[24:25], v[24:25], v[60:61]
	v_accvgpr_read_b32 v141, a41
	v_accvgpr_read_b32 v142, a18
	v_add_f64 v[26:27], v[26:27], v[66:67]
	v_add_f64 v[24:25], v[24:25], v[64:65]
	v_accvgpr_read_b32 v139, a63
	v_accvgpr_read_b32 v140, a40
	v_add_f64 v[142:143], v[160:161], -v[142:143]
	v_add_f64 v[26:27], v[26:27], v[70:71]
	v_add_f64 v[24:25], v[24:25], v[68:69]
	v_accvgpr_read_b32 v137, a87
	v_accvgpr_read_b32 v138, a62
	v_add_f64 v[140:141], v[186:187], -v[140:141]
	v_add_f64 v[142:143], v[142:143], v[146:147]
	v_add_f64 v[26:27], v[26:27], v[74:75]
	;; [unrolled: 1-line block ×3, first 2 shown]
	v_mul_f64 v[184:185], v[224:225], s[10:11]
	v_accvgpr_read_b32 v136, a86
	v_add_f64 v[138:139], v[190:191], -v[138:139]
	v_add_f64 v[140:141], v[140:141], v[142:143]
	v_add_f64 v[26:27], v[26:27], v[78:79]
	;; [unrolled: 1-line block ×3, first 2 shown]
	v_mul_f64 v[180:181], v[250:251], s[16:17]
	v_add_f64 v[136:137], v[184:185], -v[136:137]
	v_add_f64 v[138:139], v[138:139], v[140:141]
	v_add_f64 v[26:27], v[26:27], v[82:83]
	v_add_f64 v[24:25], v[24:25], v[80:81]
	v_add_f64 v[134:135], v[180:181], -v[236:237]
	v_add_f64 v[136:137], v[136:137], v[138:139]
	v_add_f64 v[26:27], v[26:27], v[86:87]
	v_add_f64 v[24:25], v[24:25], v[84:85]
	;; [unrolled: 4-line block ×3, first 2 shown]
	v_accvgpr_read_b32 v28, a3
	v_add_f64 v[128:129], v[128:129], v[134:135]
	v_add_f64 v[26:27], v[26:27], v[94:95]
	;; [unrolled: 1-line block ×3, first 2 shown]
	v_add_lshl_u32 v28, v211, v28, 4
	v_add_f64 v[128:129], v[132:133], v[128:129]
	ds_write_b128 v28, v[24:27]
	ds_write_b128 v28, v[128:131] offset:16
	ds_write_b128 v28, v[124:127] offset:32
	;; [unrolled: 1-line block ×16, first 2 shown]
.LBB0_7:
	s_or_b64 exec, exec, s[24:25]
	v_mul_u32_u24_e32 v24, 6, v144
	v_lshlrev_b32_e32 v48, 4, v24
	s_load_dwordx4 s[0:3], s[2:3], 0x0
	s_waitcnt lgkmcnt(0)
	s_barrier
	global_load_dwordx4 v[36:39], v48, s[4:5]
	global_load_dwordx4 v[32:35], v48, s[4:5] offset:16
	global_load_dwordx4 v[28:31], v48, s[4:5] offset:32
	;; [unrolled: 1-line block ×5, first 2 shown]
	v_add_lshl_u32 v212, v211, v144, 4
	ds_read_b128 v[48:51], v212
	ds_read_b128 v[52:55], v212 offset:272
	ds_read_b128 v[60:63], v212 offset:544
	;; [unrolled: 1-line block ×6, first 2 shown]
	s_mov_b32 s10, 0xe976ee23
	s_mov_b32 s11, 0xbfe11646
	s_mov_b32 s4, 0x36b3c0b5
	s_mov_b32 s6, 0x37e14327
	s_mov_b32 s5, 0x3fac98ee
	s_mov_b32 s7, 0x3fe948f6
	s_waitcnt vmcnt(5) lgkmcnt(5)
	v_mul_f64 v[80:81], v[54:55], v[38:39]
	v_mul_f64 v[82:83], v[52:53], v[38:39]
	s_waitcnt vmcnt(4) lgkmcnt(4)
	v_mul_f64 v[84:85], v[62:63], v[34:35]
	v_mul_f64 v[86:87], v[60:61], v[34:35]
	;; [unrolled: 3-line block ×6, first 2 shown]
	v_fma_f64 v[52:53], v[52:53], v[36:37], -v[80:81]
	v_fmac_f64_e32 v[82:83], v[54:55], v[36:37]
	v_fma_f64 v[54:55], v[60:61], v[32:33], -v[84:85]
	v_fmac_f64_e32 v[86:87], v[62:63], v[32:33]
	;; [unrolled: 2-line block ×6, first 2 shown]
	v_add_f64 v[68:69], v[52:53], v[66:67]
	v_add_f64 v[70:71], v[82:83], v[114:115]
	;; [unrolled: 1-line block ×4, first 2 shown]
	v_add_f64 v[54:55], v[54:55], -v[64:65]
	v_add_f64 v[64:65], v[86:87], -v[110:111]
	v_add_f64 v[76:77], v[60:61], v[62:63]
	v_add_f64 v[60:61], v[62:63], -v[60:61]
	v_add_f64 v[62:63], v[94:95], -v[90:91]
	;; [unrolled: 1-line block ×4, first 2 shown]
	v_add_f64 v[78:79], v[90:91], v[94:95]
	v_add_f64 v[80:81], v[72:73], v[68:69]
	;; [unrolled: 1-line block ×5, first 2 shown]
	v_add_f64 v[92:93], v[60:61], -v[54:55]
	v_add_f64 v[94:95], v[62:63], -v[64:65]
	;; [unrolled: 1-line block ×12, first 2 shown]
	v_add_f64 v[76:77], v[76:77], v[80:81]
	v_add_f64 v[78:79], v[78:79], v[82:83]
	;; [unrolled: 1-line block ×4, first 2 shown]
	v_mul_f64 v[88:89], v[92:93], s[10:11]
	v_mul_f64 v[90:91], v[94:95], s[10:11]
	s_mov_b32 s10, 0xaaaaaaaa
	v_add_f64 v[48:49], v[48:49], v[76:77]
	v_add_f64 v[50:51], v[50:51], v[78:79]
	s_mov_b32 s11, 0xbff2aaaa
	v_mul_f64 v[80:81], v[72:73], s[4:5]
	v_mul_f64 v[82:83], v[74:75], s[4:5]
	v_fma_f64 v[76:77], s[10:11], v[76:77], v[48:49]
	v_fma_f64 v[78:79], s[10:11], v[78:79], v[50:51]
	s_mov_b32 s11, 0x3fe77f67
	s_mov_b32 s10, 0x5476071b
	v_mul_f64 v[68:69], v[68:69], s[6:7]
	v_mul_f64 v[70:71], v[70:71], s[6:7]
	s_mov_b32 s6, 0x429ad128
	v_fma_f64 v[80:81], v[84:85], s[10:11], -v[80:81]
	v_fma_f64 v[82:83], v[86:87], s[10:11], -v[82:83]
	s_mov_b32 s11, 0xbfe77f67
	s_mov_b32 s7, 0x3febfeb5
	v_fma_f64 v[72:73], s[4:5], v[72:73], v[68:69]
	v_fma_f64 v[68:69], v[84:85], s[10:11], -v[68:69]
	v_fma_f64 v[84:85], v[86:87], s[10:11], -v[70:71]
	v_fmac_f64_e32 v[70:71], s[4:5], v[74:75]
	s_mov_b32 s5, 0x3fd5d0dc
	s_mov_b32 s4, 0xb247c609
	v_mul_f64 v[92:93], v[54:55], s[6:7]
	v_mul_f64 v[94:95], v[64:65], s[6:7]
	v_fma_f64 v[86:87], s[4:5], v[60:61], v[88:89]
	v_fma_f64 v[74:75], v[54:55], s[6:7], -v[88:89]
	v_fma_f64 v[88:89], v[64:65], s[6:7], -v[90:91]
	v_fmac_f64_e32 v[90:91], s[4:5], v[62:63]
	s_mov_b32 s5, 0xbfd5d0dc
	v_fma_f64 v[92:93], v[60:61], s[4:5], -v[92:93]
	v_fma_f64 v[94:95], v[62:63], s[4:5], -v[94:95]
	s_mov_b32 s4, 0x37c3f68c
	s_mov_b32 s5, 0x3fdc38aa
	v_add_f64 v[108:109], v[72:73], v[76:77]
	v_add_f64 v[110:111], v[70:71], v[78:79]
	;; [unrolled: 1-line block ×6, first 2 shown]
	v_fmac_f64_e32 v[86:87], s[4:5], v[52:53]
	v_fmac_f64_e32 v[90:91], s[4:5], v[66:67]
	;; [unrolled: 1-line block ×6, first 2 shown]
	v_accvgpr_read_b32 v80, a1
	v_add_f64 v[52:53], v[90:91], v[108:109]
	v_add_f64 v[54:55], v[110:111], -v[86:87]
	v_add_f64 v[60:61], v[94:95], v[76:77]
	v_add_f64 v[62:63], v[78:79], -v[92:93]
	v_add_f64 v[64:65], v[70:71], -v[88:89]
	v_add_f64 v[66:67], v[74:75], v[72:73]
	v_add_f64 v[68:69], v[88:89], v[70:71]
	v_add_f64 v[70:71], v[72:73], -v[74:75]
	v_add_f64 v[72:73], v[76:77], -v[94:95]
	v_add_f64 v[74:75], v[92:93], v[78:79]
	v_add_f64 v[76:77], v[108:109], -v[90:91]
	v_add_f64 v[78:79], v[86:87], v[110:111]
	v_lshl_add_u32 v211, v144, 4, v80
	ds_write_b128 v211, v[48:51]
	ds_write_b128 v211, v[52:55] offset:272
	ds_write_b128 v211, v[60:63] offset:544
	;; [unrolled: 1-line block ×6, first 2 shown]
	s_waitcnt lgkmcnt(0)
	s_barrier
	s_and_saveexec_b64 s[4:5], vcc
	s_cbranch_execz .LBB0_9
; %bb.8:
	global_load_dwordx4 v[80:83], v210, s[8:9] offset:1904
	s_add_u32 s6, s8, 0x770
	s_addc_u32 s7, s9, 0
	global_load_dwordx4 v[84:87], v210, s[6:7] offset:112
	global_load_dwordx4 v[88:91], v210, s[6:7] offset:224
	global_load_dwordx4 v[92:95], v210, s[6:7] offset:336
	global_load_dwordx4 v[108:111], v210, s[6:7] offset:448
	global_load_dwordx4 v[112:115], v210, s[6:7] offset:560
	global_load_dwordx4 v[116:119], v210, s[6:7] offset:672
	global_load_dwordx4 v[120:123], v210, s[6:7] offset:784
	global_load_dwordx4 v[124:127], v210, s[6:7] offset:896
	global_load_dwordx4 v[128:131], v210, s[6:7] offset:1008
	global_load_dwordx4 v[132:135], v210, s[6:7] offset:1120
	global_load_dwordx4 v[136:139], v210, s[6:7] offset:1232
	global_load_dwordx4 v[140:143], v210, s[6:7] offset:1344
	ds_read_b128 v[146:149], v211
	ds_read_b128 v[150:153], v211 offset:112
	global_load_dwordx4 v[154:157], v210, s[6:7] offset:1456
	ds_read_b128 v[158:161], v211 offset:224
	ds_read_b128 v[162:165], v211 offset:336
	;; [unrolled: 1-line block ×6, first 2 shown]
	global_load_dwordx4 v[182:185], v210, s[6:7] offset:1568
	ds_read_b128 v[186:189], v211 offset:896
	ds_read_b128 v[190:193], v211 offset:1008
	ds_read_b128 v[194:197], v211 offset:1120
	ds_read_b128 v[198:201], v211 offset:1232
	global_load_dwordx4 v[202:205], v210, s[6:7] offset:1680
	global_load_dwordx4 v[206:209], v210, s[6:7] offset:1792
	s_waitcnt vmcnt(10) lgkmcnt(5)
	v_mul_f64 v[218:219], v[176:177], v[118:119]
	s_waitcnt vmcnt(9) lgkmcnt(4)
	v_mul_f64 v[220:221], v[180:181], v[122:123]
	;; [unrolled: 2-line block ×3, first 2 shown]
	v_mul_f64 v[214:215], v[148:149], v[82:83]
	v_mul_f64 v[216:217], v[146:147], v[82:83]
	v_fma_f64 v[214:215], v[146:147], v[80:81], -v[214:215]
	v_fmac_f64_e32 v[216:217], v[148:149], v[80:81]
	v_mul_f64 v[80:81], v[152:153], v[86:87]
	v_mul_f64 v[82:83], v[150:151], v[86:87]
	ds_write_b128 v211, v[214:217]
	v_mul_f64 v[146:147], v[160:161], v[90:91]
	v_mul_f64 v[86:87], v[158:159], v[90:91]
	;; [unrolled: 1-line block ×11, first 2 shown]
	s_waitcnt vmcnt(7) lgkmcnt(3)
	v_mul_f64 v[224:225], v[192:193], v[130:131]
	v_mul_f64 v[126:127], v[190:191], v[130:131]
	s_waitcnt vmcnt(6) lgkmcnt(2)
	v_mul_f64 v[226:227], v[196:197], v[134:135]
	v_mul_f64 v[130:131], v[194:195], v[134:135]
	v_fma_f64 v[80:81], v[150:151], v[84:85], -v[80:81]
	v_fmac_f64_e32 v[82:83], v[152:153], v[84:85]
	v_fma_f64 v[84:85], v[158:159], v[88:89], -v[146:147]
	v_fmac_f64_e32 v[86:87], v[160:161], v[88:89]
	;; [unrolled: 2-line block ×10, first 2 shown]
	ds_write_b128 v211, v[80:83] offset:112
	ds_write_b128 v211, v[84:87] offset:224
	;; [unrolled: 1-line block ×10, first 2 shown]
	ds_read_b128 v[84:87], v211 offset:1344
	s_waitcnt vmcnt(5) lgkmcnt(12)
	v_mul_f64 v[80:81], v[200:201], v[138:139]
	v_mul_f64 v[82:83], v[198:199], v[138:139]
	v_fma_f64 v[80:81], v[198:199], v[136:137], -v[80:81]
	v_fmac_f64_e32 v[82:83], v[200:201], v[136:137]
	ds_write_b128 v211, v[80:83] offset:1232
	ds_read_b128 v[80:83], v211 offset:1456
	s_waitcnt vmcnt(4) lgkmcnt(2)
	v_mul_f64 v[88:89], v[86:87], v[142:143]
	v_mul_f64 v[90:91], v[84:85], v[142:143]
	v_fma_f64 v[88:89], v[84:85], v[140:141], -v[88:89]
	v_fmac_f64_e32 v[90:91], v[86:87], v[140:141]
	ds_write_b128 v211, v[88:91] offset:1344
	ds_read_b128 v[88:91], v211 offset:1568
	s_waitcnt vmcnt(3) lgkmcnt(2)
	v_mul_f64 v[84:85], v[82:83], v[156:157]
	v_mul_f64 v[86:87], v[80:81], v[156:157]
	v_fma_f64 v[84:85], v[80:81], v[154:155], -v[84:85]
	v_fmac_f64_e32 v[86:87], v[82:83], v[154:155]
	ds_read_b128 v[80:83], v211 offset:1680
	ds_write_b128 v211, v[84:87] offset:1456
	s_waitcnt vmcnt(2) lgkmcnt(2)
	v_mul_f64 v[84:85], v[90:91], v[184:185]
	v_mul_f64 v[86:87], v[88:89], v[184:185]
	v_fma_f64 v[84:85], v[88:89], v[182:183], -v[84:85]
	v_fmac_f64_e32 v[86:87], v[90:91], v[182:183]
	ds_write_b128 v211, v[84:87] offset:1568
	ds_read_b128 v[84:87], v211 offset:1792
	s_waitcnt vmcnt(1) lgkmcnt(3)
	v_mul_f64 v[88:89], v[82:83], v[204:205]
	v_mul_f64 v[90:91], v[80:81], v[204:205]
	v_fma_f64 v[88:89], v[80:81], v[202:203], -v[88:89]
	v_fmac_f64_e32 v[90:91], v[82:83], v[202:203]
	s_waitcnt vmcnt(0) lgkmcnt(0)
	v_mul_f64 v[80:81], v[86:87], v[208:209]
	v_mul_f64 v[82:83], v[84:85], v[208:209]
	v_fma_f64 v[80:81], v[84:85], v[206:207], -v[80:81]
	v_fmac_f64_e32 v[82:83], v[86:87], v[206:207]
	ds_write_b128 v211, v[88:91] offset:1680
	ds_write_b128 v211, v[80:83] offset:1792
.LBB0_9:
	s_or_b64 exec, exec, s[4:5]
	s_waitcnt lgkmcnt(0)
	s_barrier
	s_and_saveexec_b64 s[4:5], vcc
	s_cbranch_execz .LBB0_11
; %bb.10:
	ds_read_b128 v[48:51], v211
	ds_read_b128 v[52:55], v211 offset:112
	ds_read_b128 v[60:63], v211 offset:224
	;; [unrolled: 1-line block ×16, first 2 shown]
.LBB0_11:
	s_or_b64 exec, exec, s[4:5]
	s_waitcnt lgkmcnt(0)
	s_barrier
	s_and_saveexec_b64 s[4:5], vcc
	s_cbranch_execz .LBB0_13
; %bb.12:
	s_mov_b32 s34, 0xacd6c6b4
	s_mov_b32 s38, 0x5d8e7cdc
	v_add_f64 v[192:193], v[52:53], -v[0:1]
	s_mov_b32 s35, 0xbfc7851a
	s_mov_b32 s28, 0x7faef3
	v_add_f64 v[190:191], v[60:61], -v[4:5]
	s_mov_b32 s39, 0x3fd71e95
	s_mov_b32 s24, 0x370991
	v_mul_f64 v[120:121], v[192:193], s[34:35]
	v_add_f64 v[168:169], v[54:55], v[2:3]
	s_mov_b32 s29, 0xbfef7484
	v_add_f64 v[208:209], v[54:55], -v[2:3]
	s_mov_b32 s44, 0x2a9d6da3
	v_add_f64 v[182:183], v[64:65], -v[8:9]
	s_mov_b32 s22, 0x910ea3b9
	v_mul_f64 v[116:117], v[190:191], s[38:39]
	v_add_f64 v[164:165], v[62:63], v[6:7]
	s_mov_b32 s25, 0x3fedd6d0
	v_fma_f64 v[122:123], s[28:29], v[168:169], v[120:121]
	v_add_f64 v[206:207], v[62:63], -v[6:7]
	v_add_f64 v[188:189], v[52:53], v[0:1]
	v_mul_f64 v[138:139], v[208:209], s[34:35]
	v_add_f64 v[170:171], v[68:69], -v[12:13]
	s_mov_b32 s45, 0x3fe58eea
	v_mul_f64 v[112:113], v[182:183], s[30:31]
	v_add_f64 v[160:161], v[66:67], v[10:11]
	s_mov_b32 s23, 0xbfeb34fa
	v_fma_f64 v[118:119], s[24:25], v[164:165], v[116:117]
	v_add_f64 v[122:123], v[50:51], v[122:123]
	v_add_f64 v[204:205], v[66:67], -v[10:11]
	v_add_f64 v[186:187], v[60:61], v[4:5]
	v_mul_f64 v[134:135], v[206:207], s[38:39]
	v_fma_f64 v[140:141], v[188:189], s[28:29], -v[138:139]
	s_mov_b32 s36, 0x7c9e640b
	v_add_f64 v[166:167], v[72:73], -v[16:17]
	v_mul_f64 v[108:109], v[170:171], s[44:45]
	v_add_f64 v[156:157], v[70:71], v[14:15]
	v_fma_f64 v[114:115], s[22:23], v[160:161], v[112:113]
	v_add_f64 v[118:119], v[118:119], v[122:123]
	v_add_f64 v[202:203], v[70:71], -v[14:15]
	v_add_f64 v[184:185], v[64:65], v[8:9]
	v_mul_f64 v[130:131], v[204:205], s[30:31]
	v_fma_f64 v[136:137], v[186:187], s[24:25], -v[134:135]
	v_add_f64 v[140:141], v[48:49], v[140:141]
	s_mov_b32 s20, 0x923c349f
	v_add_f64 v[162:163], v[76:77], -v[20:21]
	s_mov_b32 s37, 0x3feca52d
	s_mov_b32 s14, 0x2b2883cd
	v_mul_f64 v[92:93], v[166:167], s[26:27]
	v_add_f64 v[152:153], v[74:75], v[18:19]
	v_fma_f64 v[110:111], s[18:19], v[156:157], v[108:109]
	v_add_f64 v[114:115], v[114:115], v[118:119]
	v_add_f64 v[200:201], v[74:75], -v[18:19]
	v_add_f64 v[180:181], v[68:69], v[12:13]
	v_mul_f64 v[126:127], v[202:203], s[44:45]
	v_fma_f64 v[132:133], v[184:185], s[22:23], -v[130:131]
	v_add_f64 v[136:137], v[136:137], v[140:141]
	s_mov_b32 s48, 0xeb564b22
	v_add_f64 v[158:159], v[56:57], -v[96:97]
	s_mov_b32 s21, 0xbfeec746
	s_mov_b32 s10, 0xc61f0d01
	v_mul_f64 v[88:89], v[162:163], s[36:37]
	v_add_f64 v[150:151], v[78:79], v[22:23]
	s_mov_b32 s15, 0x3fdc86fa
	v_fma_f64 v[94:95], s[16:17], v[152:153], v[92:93]
	v_add_f64 v[110:111], v[110:111], v[114:115]
	v_add_f64 v[198:199], v[78:79], -v[22:23]
	v_add_f64 v[178:179], v[72:73], v[16:17]
	v_mul_f64 v[122:123], v[200:201], s[26:27]
	v_fma_f64 v[128:129], v[180:181], s[18:19], -v[126:127]
	v_add_f64 v[132:133], v[132:133], v[136:137]
	v_add_f64 v[154:155], v[100:101], -v[104:105]
	s_mov_b32 s49, 0x3fefdd0d
	s_mov_b32 s6, 0x3259b75e
	v_mul_f64 v[86:87], v[158:159], s[20:21]
	v_add_f64 v[148:149], v[58:59], v[98:99]
	s_mov_b32 s11, 0xbfd183b1
	v_fma_f64 v[90:91], s[14:15], v[150:151], v[88:89]
	v_add_f64 v[94:95], v[94:95], v[110:111]
	v_add_f64 v[196:197], v[58:59], -v[98:99]
	v_add_f64 v[176:177], v[76:77], v[20:21]
	v_mul_f64 v[114:115], v[198:199], s[36:37]
	v_fma_f64 v[124:125], v[178:179], s[16:17], -v[122:123]
	v_add_f64 v[128:129], v[128:129], v[132:133]
	v_mul_f64 v[84:85], v[154:155], s[48:49]
	v_add_f64 v[146:147], v[102:103], v[106:107]
	s_mov_b32 s7, 0x3fb79ee6
	v_fma_f64 v[82:83], s[10:11], v[148:149], v[86:87]
	v_add_f64 v[90:91], v[90:91], v[94:95]
	v_add_f64 v[194:195], v[102:103], -v[106:107]
	v_add_f64 v[174:175], v[56:57], v[96:97]
	v_mul_f64 v[94:95], v[196:197], s[20:21]
	v_fma_f64 v[118:119], v[176:177], s[14:15], -v[114:115]
	v_add_f64 v[124:125], v[124:125], v[128:129]
	v_fma_f64 v[80:81], s[6:7], v[146:147], v[84:85]
	v_add_f64 v[82:83], v[82:83], v[90:91]
	v_add_f64 v[172:173], v[100:101], v[104:105]
	v_mul_f64 v[90:91], v[194:195], s[48:49]
	v_fma_f64 v[110:111], v[174:175], s[10:11], -v[94:95]
	v_add_f64 v[118:119], v[118:119], v[124:125]
	v_add_f64 v[82:83], v[80:81], v[82:83]
	v_fma_f64 v[80:81], v[172:173], s[6:7], -v[90:91]
	v_add_f64 v[110:111], v[110:111], v[118:119]
	v_add_f64 v[80:81], v[80:81], v[110:111]
	v_fma_f64 v[110:111], v[160:161], s[22:23], -v[112:113]
	v_fma_f64 v[112:113], v[164:165], s[24:25], -v[116:117]
	;; [unrolled: 1-line block ×3, first 2 shown]
	v_add_f64 v[116:117], v[50:51], v[116:117]
	v_add_f64 v[112:113], v[112:113], v[116:117]
	v_fma_f64 v[108:109], v[156:157], s[18:19], -v[108:109]
	v_add_f64 v[110:111], v[110:111], v[112:113]
	v_fma_f64 v[92:93], v[152:153], s[16:17], -v[92:93]
	;; [unrolled: 2-line block ×5, first 2 shown]
	v_add_f64 v[86:87], v[86:87], v[88:89]
	v_fmac_f64_e32 v[138:139], s[28:29], v[188:189]
	v_add_f64 v[86:87], v[84:85], v[86:87]
	v_fmac_f64_e32 v[134:135], s[24:25], v[186:187]
	;; [unrolled: 2-line block ×3, first 2 shown]
	v_add_f64 v[84:85], v[134:135], v[84:85]
	v_mul_f64 v[128:129], v[192:193], s[30:31]
	v_fmac_f64_e32 v[126:127], s[18:19], v[180:181]
	v_add_f64 v[84:85], v[130:131], v[84:85]
	s_mov_b32 s43, 0xbfefdd0d
	s_mov_b32 s42, s48
	v_mul_f64 v[124:125], v[190:191], s[36:37]
	v_fma_f64 v[130:131], s[22:23], v[168:169], v[128:129]
	v_mul_f64 v[216:217], v[208:209], s[30:31]
	v_fmac_f64_e32 v[122:123], s[16:17], v[178:179]
	v_add_f64 v[84:85], v[126:127], v[84:85]
	s_mov_b32 s55, 0x3fe9895b
	s_mov_b32 s54, s26
	v_mul_f64 v[120:121], v[182:183], s[42:43]
	v_fma_f64 v[126:127], s[14:15], v[164:165], v[124:125]
	v_add_f64 v[130:131], v[50:51], v[130:131]
	v_mul_f64 v[142:143], v[206:207], s[36:37]
	v_fma_f64 v[218:219], v[188:189], s[22:23], -v[216:217]
	v_add_f64 v[84:85], v[122:123], v[84:85]
	s_mov_b32 s41, 0xbfd71e95
	s_mov_b32 s40, s38
	v_mul_f64 v[116:117], v[170:171], s[54:55]
	v_fma_f64 v[122:123], s[6:7], v[160:161], v[120:121]
	v_add_f64 v[126:127], v[126:127], v[130:131]
	v_mul_f64 v[138:139], v[204:205], s[42:43]
	v_fma_f64 v[214:215], v[186:187], s[14:15], -v[142:143]
	v_add_f64 v[218:219], v[48:49], v[218:219]
	v_fmac_f64_e32 v[114:115], s[14:15], v[176:177]
	v_mul_f64 v[112:113], v[166:167], s[40:41]
	v_fma_f64 v[118:119], s[16:17], v[156:157], v[116:117]
	v_add_f64 v[122:123], v[122:123], v[126:127]
	v_mul_f64 v[134:135], v[202:203], s[54:55]
	v_fma_f64 v[140:141], v[184:185], s[6:7], -v[138:139]
	v_add_f64 v[214:215], v[214:215], v[218:219]
	v_fmac_f64_e32 v[94:95], s[10:11], v[174:175]
	v_add_f64 v[84:85], v[114:115], v[84:85]
	v_mul_f64 v[108:109], v[162:163], s[34:35]
	v_fma_f64 v[114:115], s[24:25], v[152:153], v[112:113]
	v_add_f64 v[118:119], v[118:119], v[122:123]
	v_mul_f64 v[130:131], v[200:201], s[40:41]
	v_fma_f64 v[136:137], v[180:181], s[16:17], -v[134:135]
	v_add_f64 v[140:141], v[140:141], v[214:215]
	v_fmac_f64_e32 v[90:91], s[6:7], v[172:173]
	v_add_f64 v[84:85], v[94:95], v[84:85]
	v_mul_f64 v[94:95], v[158:159], s[44:45]
	v_fma_f64 v[110:111], s[28:29], v[150:151], v[108:109]
	v_add_f64 v[114:115], v[114:115], v[118:119]
	v_mul_f64 v[122:123], v[198:199], s[34:35]
	v_fma_f64 v[132:133], v[178:179], s[24:25], -v[130:131]
	v_add_f64 v[136:137], v[136:137], v[140:141]
	v_add_f64 v[84:85], v[90:91], v[84:85]
	v_mul_f64 v[92:93], v[154:155], s[20:21]
	v_fma_f64 v[90:91], s[18:19], v[148:149], v[94:95]
	v_add_f64 v[110:111], v[110:111], v[114:115]
	v_mul_f64 v[114:115], v[196:197], s[44:45]
	v_fma_f64 v[126:127], v[176:177], s[28:29], -v[122:123]
	v_add_f64 v[132:133], v[132:133], v[136:137]
	v_fma_f64 v[88:89], s[10:11], v[146:147], v[92:93]
	v_add_f64 v[90:91], v[90:91], v[110:111]
	v_mul_f64 v[110:111], v[194:195], s[20:21]
	v_fma_f64 v[118:119], v[174:175], s[18:19], -v[114:115]
	v_add_f64 v[126:127], v[126:127], v[132:133]
	v_add_f64 v[90:91], v[88:89], v[90:91]
	v_fma_f64 v[88:89], v[172:173], s[10:11], -v[110:111]
	v_add_f64 v[118:119], v[118:119], v[126:127]
	v_add_f64 v[88:89], v[88:89], v[118:119]
	v_fma_f64 v[118:119], v[160:161], s[6:7], -v[120:121]
	v_fma_f64 v[120:121], v[164:165], s[14:15], -v[124:125]
	;; [unrolled: 1-line block ×3, first 2 shown]
	v_add_f64 v[124:125], v[50:51], v[124:125]
	v_add_f64 v[120:121], v[120:121], v[124:125]
	v_fma_f64 v[116:117], v[156:157], s[16:17], -v[116:117]
	v_add_f64 v[118:119], v[118:119], v[120:121]
	v_fma_f64 v[112:113], v[152:153], s[24:25], -v[112:113]
	;; [unrolled: 2-line block ×5, first 2 shown]
	v_add_f64 v[94:95], v[94:95], v[108:109]
	v_fmac_f64_e32 v[216:217], s[22:23], v[188:189]
	v_add_f64 v[94:95], v[92:93], v[94:95]
	v_fmac_f64_e32 v[142:143], s[14:15], v[186:187]
	;; [unrolled: 2-line block ×3, first 2 shown]
	v_add_f64 v[92:93], v[142:143], v[92:93]
	s_mov_b32 s53, 0x3feec746
	s_mov_b32 s52, s20
	v_mul_f64 v[136:137], v[192:193], s[26:27]
	v_fmac_f64_e32 v[134:135], s[16:17], v[180:181]
	v_add_f64 v[92:93], v[138:139], v[92:93]
	v_mul_f64 v[132:133], v[190:191], s[52:53]
	v_fma_f64 v[138:139], s[16:17], v[168:169], v[136:137]
	v_mul_f64 v[224:225], v[208:209], s[26:27]
	v_fmac_f64_e32 v[130:131], s[24:25], v[178:179]
	v_add_f64 v[92:93], v[134:135], v[92:93]
	v_mul_f64 v[128:129], v[182:183], s[40:41]
	v_fma_f64 v[134:135], s[10:11], v[164:165], v[132:133]
	v_add_f64 v[138:139], v[50:51], v[138:139]
	v_mul_f64 v[220:221], v[206:207], s[52:53]
	v_fma_f64 v[226:227], v[188:189], s[16:17], -v[224:225]
	v_add_f64 v[92:93], v[130:131], v[92:93]
	v_mul_f64 v[124:125], v[170:171], s[30:31]
	v_fma_f64 v[130:131], s[24:25], v[160:161], v[128:129]
	v_add_f64 v[134:135], v[134:135], v[138:139]
	v_mul_f64 v[216:217], v[204:205], s[40:41]
	v_fma_f64 v[222:223], v[186:187], s[10:11], -v[220:221]
	v_add_f64 v[226:227], v[48:49], v[226:227]
	v_fmac_f64_e32 v[122:123], s[28:29], v[176:177]
	s_mov_b32 s47, 0xbfe58eea
	s_mov_b32 s46, s44
	v_mul_f64 v[120:121], v[166:167], s[48:49]
	v_fma_f64 v[126:127], s[22:23], v[156:157], v[124:125]
	v_add_f64 v[130:131], v[130:131], v[134:135]
	v_mul_f64 v[142:143], v[202:203], s[30:31]
	v_fma_f64 v[218:219], v[184:185], s[24:25], -v[216:217]
	v_add_f64 v[222:223], v[222:223], v[226:227]
	v_fmac_f64_e32 v[114:115], s[18:19], v[174:175]
	v_add_f64 v[92:93], v[122:123], v[92:93]
	v_mul_f64 v[116:117], v[162:163], s[46:47]
	v_fma_f64 v[122:123], s[6:7], v[152:153], v[120:121]
	v_add_f64 v[126:127], v[126:127], v[130:131]
	v_mul_f64 v[138:139], v[200:201], s[48:49]
	v_fma_f64 v[214:215], v[180:181], s[22:23], -v[142:143]
	v_add_f64 v[218:219], v[218:219], v[222:223]
	v_fmac_f64_e32 v[110:111], s[10:11], v[172:173]
	v_add_f64 v[92:93], v[114:115], v[92:93]
	v_mul_f64 v[114:115], v[158:159], s[34:35]
	v_fma_f64 v[118:119], s[18:19], v[150:151], v[116:117]
	v_add_f64 v[122:123], v[122:123], v[126:127]
	v_mul_f64 v[130:131], v[198:199], s[46:47]
	v_fma_f64 v[140:141], v[178:179], s[6:7], -v[138:139]
	v_add_f64 v[214:215], v[214:215], v[218:219]
	v_add_f64 v[92:93], v[110:111], v[92:93]
	v_mul_f64 v[112:113], v[154:155], s[36:37]
	v_fma_f64 v[110:111], s[28:29], v[148:149], v[114:115]
	v_add_f64 v[118:119], v[118:119], v[122:123]
	v_mul_f64 v[122:123], v[196:197], s[34:35]
	v_fma_f64 v[134:135], v[176:177], s[18:19], -v[130:131]
	v_add_f64 v[140:141], v[140:141], v[214:215]
	v_fma_f64 v[108:109], s[14:15], v[146:147], v[112:113]
	v_add_f64 v[110:111], v[110:111], v[118:119]
	v_mul_f64 v[118:119], v[194:195], s[36:37]
	v_fma_f64 v[126:127], v[174:175], s[28:29], -v[122:123]
	v_add_f64 v[134:135], v[134:135], v[140:141]
	v_add_f64 v[110:111], v[108:109], v[110:111]
	v_fma_f64 v[108:109], v[172:173], s[14:15], -v[118:119]
	v_add_f64 v[126:127], v[126:127], v[134:135]
	v_add_f64 v[108:109], v[108:109], v[126:127]
	v_fma_f64 v[126:127], v[160:161], s[24:25], -v[128:129]
	v_fma_f64 v[128:129], v[164:165], s[10:11], -v[132:133]
	;; [unrolled: 1-line block ×3, first 2 shown]
	v_add_f64 v[132:133], v[50:51], v[132:133]
	v_add_f64 v[128:129], v[128:129], v[132:133]
	v_fma_f64 v[124:125], v[156:157], s[22:23], -v[124:125]
	v_add_f64 v[126:127], v[126:127], v[128:129]
	v_fma_f64 v[120:121], v[152:153], s[6:7], -v[120:121]
	;; [unrolled: 2-line block ×5, first 2 shown]
	v_add_f64 v[114:115], v[114:115], v[116:117]
	v_fmac_f64_e32 v[224:225], s[16:17], v[188:189]
	v_add_f64 v[114:115], v[112:113], v[114:115]
	v_fmac_f64_e32 v[220:221], s[10:11], v[186:187]
	;; [unrolled: 2-line block ×3, first 2 shown]
	v_add_f64 v[112:113], v[220:221], v[112:113]
	s_mov_b32 s57, 0x3fe0d888
	s_mov_b32 s56, s30
	v_mul_f64 v[214:215], v[192:193], s[20:21]
	v_fmac_f64_e32 v[142:143], s[22:23], v[180:181]
	v_add_f64 v[112:113], v[216:217], v[112:113]
	v_mul_f64 v[140:141], v[190:191], s[56:57]
	v_fma_f64 v[216:217], s[10:11], v[168:169], v[214:215]
	v_mul_f64 v[232:233], v[208:209], s[20:21]
	v_fmac_f64_e32 v[138:139], s[6:7], v[178:179]
	v_add_f64 v[112:113], v[142:143], v[112:113]
	s_mov_b32 s51, 0xbfeca52d
	s_mov_b32 s50, s36
	v_mul_f64 v[136:137], v[182:183], s[44:45]
	v_fma_f64 v[142:143], s[22:23], v[164:165], v[140:141]
	v_add_f64 v[216:217], v[50:51], v[216:217]
	v_mul_f64 v[228:229], v[206:207], s[56:57]
	v_fma_f64 v[234:235], v[188:189], s[10:11], -v[232:233]
	v_add_f64 v[112:113], v[138:139], v[112:113]
	v_mul_f64 v[132:133], v[170:171], s[50:51]
	v_fma_f64 v[138:139], s[18:19], v[160:161], v[136:137]
	v_add_f64 v[142:143], v[142:143], v[216:217]
	v_mul_f64 v[224:225], v[204:205], s[44:45]
	v_fma_f64 v[230:231], v[186:187], s[22:23], -v[228:229]
	v_add_f64 v[234:235], v[48:49], v[234:235]
	v_fmac_f64_e32 v[130:131], s[18:19], v[176:177]
	v_mul_f64 v[128:129], v[166:167], s[34:35]
	v_fma_f64 v[134:135], s[14:15], v[156:157], v[132:133]
	v_add_f64 v[138:139], v[138:139], v[142:143]
	v_mul_f64 v[220:221], v[202:203], s[50:51]
	v_fma_f64 v[226:227], v[184:185], s[18:19], -v[224:225]
	v_add_f64 v[230:231], v[230:231], v[234:235]
	v_fmac_f64_e32 v[122:123], s[28:29], v[174:175]
	v_add_f64 v[112:113], v[130:131], v[112:113]
	v_mul_f64 v[124:125], v[162:163], s[48:49]
	v_fma_f64 v[130:131], s[28:29], v[152:153], v[128:129]
	v_add_f64 v[134:135], v[134:135], v[138:139]
	v_mul_f64 v[216:217], v[200:201], s[34:35]
	v_fma_f64 v[222:223], v[180:181], s[14:15], -v[220:221]
	v_add_f64 v[226:227], v[226:227], v[230:231]
	v_fmac_f64_e32 v[118:119], s[14:15], v[172:173]
	v_add_f64 v[112:113], v[122:123], v[112:113]
	v_mul_f64 v[122:123], v[158:159], s[40:41]
	v_fma_f64 v[126:127], s[6:7], v[150:151], v[124:125]
	v_add_f64 v[130:131], v[130:131], v[134:135]
	v_mul_f64 v[138:139], v[198:199], s[48:49]
	v_fma_f64 v[218:219], v[178:179], s[28:29], -v[216:217]
	v_add_f64 v[222:223], v[222:223], v[226:227]
	v_add_f64 v[112:113], v[118:119], v[112:113]
	v_mul_f64 v[120:121], v[154:155], s[26:27]
	v_fma_f64 v[118:119], s[24:25], v[148:149], v[122:123]
	v_add_f64 v[126:127], v[126:127], v[130:131]
	v_mul_f64 v[130:131], v[196:197], s[40:41]
	v_fma_f64 v[142:143], v[176:177], s[6:7], -v[138:139]
	v_add_f64 v[218:219], v[218:219], v[222:223]
	v_fma_f64 v[116:117], s[16:17], v[146:147], v[120:121]
	v_add_f64 v[118:119], v[118:119], v[126:127]
	v_mul_f64 v[126:127], v[194:195], s[26:27]
	v_fma_f64 v[134:135], v[174:175], s[24:25], -v[130:131]
	v_add_f64 v[142:143], v[142:143], v[218:219]
	v_add_f64 v[118:119], v[116:117], v[118:119]
	v_fma_f64 v[116:117], v[172:173], s[16:17], -v[126:127]
	v_add_f64 v[134:135], v[134:135], v[142:143]
	v_add_f64 v[116:117], v[116:117], v[134:135]
	v_fma_f64 v[134:135], v[160:161], s[18:19], -v[136:137]
	v_fma_f64 v[136:137], v[164:165], s[22:23], -v[140:141]
	;; [unrolled: 1-line block ×3, first 2 shown]
	v_add_f64 v[140:141], v[50:51], v[140:141]
	v_add_f64 v[136:137], v[136:137], v[140:141]
	v_fma_f64 v[132:133], v[156:157], s[14:15], -v[132:133]
	v_add_f64 v[134:135], v[134:135], v[136:137]
	v_fma_f64 v[128:129], v[152:153], s[28:29], -v[128:129]
	;; [unrolled: 2-line block ×5, first 2 shown]
	v_add_f64 v[122:123], v[122:123], v[124:125]
	v_fmac_f64_e32 v[232:233], s[10:11], v[188:189]
	v_add_f64 v[122:123], v[120:121], v[122:123]
	v_fmac_f64_e32 v[228:229], s[22:23], v[186:187]
	;; [unrolled: 2-line block ×3, first 2 shown]
	v_add_f64 v[120:121], v[228:229], v[120:121]
	v_mul_f64 v[222:223], v[192:193], s[42:43]
	v_fmac_f64_e32 v[220:221], s[14:15], v[180:181]
	v_add_f64 v[120:121], v[224:225], v[120:121]
	v_mul_f64 v[218:219], v[190:191], s[34:35]
	v_fma_f64 v[224:225], s[6:7], v[168:169], v[222:223]
	v_mul_f64 v[240:241], v[208:209], s[42:43]
	v_fmac_f64_e32 v[216:217], s[28:29], v[178:179]
	v_add_f64 v[120:121], v[220:221], v[120:121]
	v_mul_f64 v[214:215], v[182:183], s[52:53]
	v_fma_f64 v[220:221], s[28:29], v[164:165], v[218:219]
	v_add_f64 v[224:225], v[50:51], v[224:225]
	v_mul_f64 v[236:237], v[206:207], s[34:35]
	v_fma_f64 v[242:243], v[188:189], s[6:7], -v[240:241]
	v_add_f64 v[120:121], v[216:217], v[120:121]
	v_mul_f64 v[140:141], v[170:171], s[38:39]
	v_fma_f64 v[216:217], s[10:11], v[160:161], v[214:215]
	v_add_f64 v[220:221], v[220:221], v[224:225]
	v_mul_f64 v[232:233], v[204:205], s[52:53]
	v_fma_f64 v[238:239], v[186:187], s[28:29], -v[236:237]
	v_add_f64 v[242:243], v[48:49], v[242:243]
	v_fmac_f64_e32 v[138:139], s[6:7], v[176:177]
	v_mul_f64 v[136:137], v[166:167], s[50:51]
	v_fma_f64 v[142:143], s[24:25], v[156:157], v[140:141]
	v_add_f64 v[216:217], v[216:217], v[220:221]
	v_mul_f64 v[228:229], v[202:203], s[38:39]
	v_fma_f64 v[234:235], v[184:185], s[10:11], -v[232:233]
	v_add_f64 v[238:239], v[238:239], v[242:243]
	v_fmac_f64_e32 v[130:131], s[24:25], v[174:175]
	v_add_f64 v[120:121], v[138:139], v[120:121]
	v_mul_f64 v[132:133], v[162:163], s[30:31]
	v_fma_f64 v[138:139], s[14:15], v[152:153], v[136:137]
	v_add_f64 v[142:143], v[142:143], v[216:217]
	v_mul_f64 v[224:225], v[200:201], s[50:51]
	v_fma_f64 v[230:231], v[180:181], s[24:25], -v[228:229]
	v_add_f64 v[234:235], v[234:235], v[238:239]
	v_fmac_f64_e32 v[126:127], s[16:17], v[172:173]
	v_add_f64 v[120:121], v[130:131], v[120:121]
	v_mul_f64 v[130:131], v[158:159], s[54:55]
	v_fma_f64 v[134:135], s[22:23], v[150:151], v[132:133]
	v_add_f64 v[138:139], v[138:139], v[142:143]
	v_mul_f64 v[216:217], v[198:199], s[30:31]
	v_fma_f64 v[226:227], v[178:179], s[14:15], -v[224:225]
	v_add_f64 v[230:231], v[230:231], v[234:235]
	v_add_f64 v[120:121], v[126:127], v[120:121]
	v_mul_f64 v[128:129], v[154:155], s[44:45]
	v_fma_f64 v[126:127], s[16:17], v[148:149], v[130:131]
	v_add_f64 v[134:135], v[134:135], v[138:139]
	v_mul_f64 v[138:139], v[196:197], s[54:55]
	v_fma_f64 v[220:221], v[176:177], s[22:23], -v[216:217]
	v_add_f64 v[226:227], v[226:227], v[230:231]
	v_fma_f64 v[124:125], s[18:19], v[146:147], v[128:129]
	v_add_f64 v[126:127], v[126:127], v[134:135]
	v_mul_f64 v[134:135], v[194:195], s[44:45]
	v_fma_f64 v[142:143], v[174:175], s[16:17], -v[138:139]
	v_add_f64 v[220:221], v[220:221], v[226:227]
	v_add_f64 v[126:127], v[124:125], v[126:127]
	v_fma_f64 v[124:125], v[172:173], s[18:19], -v[134:135]
	v_add_f64 v[142:143], v[142:143], v[220:221]
	v_add_f64 v[124:125], v[124:125], v[142:143]
	v_fma_f64 v[142:143], v[160:161], s[10:11], -v[214:215]
	v_fma_f64 v[214:215], v[164:165], s[28:29], -v[218:219]
	;; [unrolled: 1-line block ×3, first 2 shown]
	v_add_f64 v[218:219], v[50:51], v[218:219]
	v_add_f64 v[214:215], v[214:215], v[218:219]
	v_fma_f64 v[140:141], v[156:157], s[24:25], -v[140:141]
	v_add_f64 v[142:143], v[142:143], v[214:215]
	v_fma_f64 v[136:137], v[152:153], s[14:15], -v[136:137]
	;; [unrolled: 2-line block ×5, first 2 shown]
	v_add_f64 v[130:131], v[130:131], v[132:133]
	v_fmac_f64_e32 v[240:241], s[6:7], v[188:189]
	v_add_f64 v[130:131], v[128:129], v[130:131]
	v_fmac_f64_e32 v[236:237], s[28:29], v[186:187]
	;; [unrolled: 2-line block ×3, first 2 shown]
	v_add_f64 v[128:129], v[236:237], v[128:129]
	v_mul_f64 v[230:231], v[192:193], s[50:51]
	v_fmac_f64_e32 v[228:229], s[24:25], v[180:181]
	v_add_f64 v[128:129], v[232:233], v[128:129]
	s_mov_b32 s49, 0x3fc7851a
	s_mov_b32 s48, s34
	v_mul_f64 v[226:227], v[190:191], s[26:27]
	v_fma_f64 v[232:233], s[14:15], v[168:169], v[230:231]
	v_mul_f64 v[248:249], v[208:209], s[50:51]
	v_fmac_f64_e32 v[224:225], s[14:15], v[178:179]
	v_add_f64 v[128:129], v[228:229], v[128:129]
	v_mul_f64 v[222:223], v[182:183], s[48:49]
	v_fma_f64 v[228:229], s[16:17], v[164:165], v[226:227]
	v_add_f64 v[232:233], v[50:51], v[232:233]
	v_mul_f64 v[244:245], v[206:207], s[26:27]
	v_fma_f64 v[250:251], v[188:189], s[14:15], -v[248:249]
	v_add_f64 v[128:129], v[224:225], v[128:129]
	v_mul_f64 v[218:219], v[170:171], s[52:53]
	v_fma_f64 v[224:225], s[28:29], v[160:161], v[222:223]
	v_add_f64 v[228:229], v[228:229], v[232:233]
	v_mul_f64 v[240:241], v[204:205], s[48:49]
	v_fma_f64 v[246:247], v[186:187], s[16:17], -v[244:245]
	v_add_f64 v[250:251], v[48:49], v[250:251]
	v_fmac_f64_e32 v[216:217], s[22:23], v[176:177]
	v_mul_f64 v[214:215], v[166:167], s[44:45]
	v_fma_f64 v[220:221], s[10:11], v[156:157], v[218:219]
	v_add_f64 v[224:225], v[224:225], v[228:229]
	v_mul_f64 v[236:237], v[202:203], s[52:53]
	v_fma_f64 v[242:243], v[184:185], s[28:29], -v[240:241]
	v_add_f64 v[246:247], v[246:247], v[250:251]
	v_fmac_f64_e32 v[138:139], s[16:17], v[174:175]
	v_add_f64 v[128:129], v[216:217], v[128:129]
	v_mul_f64 v[140:141], v[162:163], s[40:41]
	v_fma_f64 v[216:217], s[18:19], v[152:153], v[214:215]
	v_add_f64 v[220:221], v[220:221], v[224:225]
	v_mul_f64 v[232:233], v[200:201], s[44:45]
	v_fma_f64 v[238:239], v[180:181], s[10:11], -v[236:237]
	v_add_f64 v[242:243], v[242:243], v[246:247]
	v_fmac_f64_e32 v[134:135], s[18:19], v[172:173]
	v_add_f64 v[128:129], v[138:139], v[128:129]
	v_mul_f64 v[138:139], v[158:159], s[42:43]
	v_fma_f64 v[142:143], s[24:25], v[150:151], v[140:141]
	v_add_f64 v[216:217], v[216:217], v[220:221]
	v_mul_f64 v[224:225], v[198:199], s[40:41]
	v_fma_f64 v[234:235], v[178:179], s[18:19], -v[232:233]
	v_add_f64 v[238:239], v[238:239], v[242:243]
	v_add_f64 v[128:129], v[134:135], v[128:129]
	v_mul_f64 v[136:137], v[154:155], s[30:31]
	v_fma_f64 v[134:135], s[6:7], v[148:149], v[138:139]
	v_add_f64 v[142:143], v[142:143], v[216:217]
	v_mul_f64 v[220:221], v[196:197], s[42:43]
	v_fma_f64 v[228:229], v[176:177], s[24:25], -v[224:225]
	v_add_f64 v[234:235], v[234:235], v[238:239]
	v_fma_f64 v[132:133], s[22:23], v[146:147], v[136:137]
	v_add_f64 v[134:135], v[134:135], v[142:143]
	v_mul_f64 v[216:217], v[194:195], s[30:31]
	v_fma_f64 v[142:143], v[174:175], s[6:7], -v[220:221]
	v_add_f64 v[228:229], v[228:229], v[234:235]
	v_add_f64 v[134:135], v[132:133], v[134:135]
	v_fma_f64 v[132:133], v[172:173], s[22:23], -v[216:217]
	v_add_f64 v[142:143], v[142:143], v[228:229]
	v_add_f64 v[132:133], v[132:133], v[142:143]
	v_fma_f64 v[142:143], v[152:153], s[18:19], -v[214:215]
	v_fma_f64 v[214:215], v[156:157], s[10:11], -v[218:219]
	;; [unrolled: 1-line block ×5, first 2 shown]
	v_add_f64 v[226:227], v[50:51], v[226:227]
	v_add_f64 v[222:223], v[222:223], v[226:227]
	;; [unrolled: 1-line block ×4, first 2 shown]
	v_fma_f64 v[140:141], v[150:151], s[24:25], -v[140:141]
	v_add_f64 v[142:143], v[142:143], v[214:215]
	v_fma_f64 v[138:139], v[148:149], s[6:7], -v[138:139]
	v_add_f64 v[140:141], v[140:141], v[142:143]
	;; [unrolled: 2-line block ×3, first 2 shown]
	v_fmac_f64_e32 v[248:249], s[14:15], v[188:189]
	v_add_f64 v[142:143], v[136:137], v[138:139]
	v_fmac_f64_e32 v[244:245], s[16:17], v[186:187]
	v_add_f64 v[136:137], v[48:49], v[248:249]
	;; [unrolled: 2-line block ×3, first 2 shown]
	v_mul_f64 v[238:239], v[192:193], s[46:47]
	v_accvgpr_write_b32 a4, v80
	v_fmac_f64_e32 v[236:237], s[10:11], v[180:181]
	v_add_f64 v[136:137], v[240:241], v[136:137]
	v_mul_f64 v[234:235], v[190:191], s[42:43]
	v_fma_f64 v[240:241], s[18:19], v[168:169], v[238:239]
	v_mov_b32_e32 v213, v144
	v_accvgpr_write_b32 a0, v145
	v_mul_f64 v[144:145], v[208:209], s[46:47]
	v_accvgpr_write_b32 a5, v81
	v_accvgpr_write_b32 a6, v82
	;; [unrolled: 1-line block ×3, first 2 shown]
	v_fmac_f64_e32 v[232:233], s[18:19], v[178:179]
	v_add_f64 v[136:137], v[236:237], v[136:137]
	v_mul_f64 v[230:231], v[182:183], s[26:27]
	v_fma_f64 v[236:237], s[6:7], v[164:165], v[234:235]
	v_add_f64 v[240:241], v[50:51], v[240:241]
	v_mul_f64 v[252:253], v[206:207], s[42:43]
	v_fma_f64 v[80:81], v[188:189], s[18:19], -v[144:145]
	v_fmac_f64_e32 v[224:225], s[24:25], v[176:177]
	v_add_f64 v[136:137], v[232:233], v[136:137]
	v_mul_f64 v[226:227], v[170:171], s[34:35]
	v_fma_f64 v[232:233], s[16:17], v[160:161], v[230:231]
	v_add_f64 v[236:237], v[236:237], v[240:241]
	v_mul_f64 v[248:249], v[204:205], s[26:27]
	v_fma_f64 v[254:255], v[186:187], s[6:7], -v[252:253]
	v_add_f64 v[80:81], v[48:49], v[80:81]
	v_fmac_f64_e32 v[220:221], s[6:7], v[174:175]
	v_add_f64 v[136:137], v[224:225], v[136:137]
	v_mul_f64 v[222:223], v[166:167], s[56:57]
	v_fma_f64 v[228:229], s[28:29], v[156:157], v[226:227]
	v_add_f64 v[232:233], v[232:233], v[236:237]
	v_mul_f64 v[244:245], v[202:203], s[34:35]
	v_fma_f64 v[250:251], v[184:185], s[16:17], -v[248:249]
	v_add_f64 v[80:81], v[254:255], v[80:81]
	v_fmac_f64_e32 v[216:217], s[22:23], v[172:173]
	v_add_f64 v[136:137], v[220:221], v[136:137]
	v_mul_f64 v[218:219], v[162:163], s[52:53]
	v_fma_f64 v[224:225], s[22:23], v[152:153], v[222:223]
	v_add_f64 v[228:229], v[228:229], v[232:233]
	v_mul_f64 v[240:241], v[200:201], s[56:57]
	v_fma_f64 v[246:247], v[180:181], s[28:29], -v[244:245]
	v_add_f64 v[80:81], v[250:251], v[80:81]
	v_add_f64 v[140:141], v[216:217], v[136:137]
	v_mul_f64 v[216:217], v[158:159], s[36:37]
	v_fma_f64 v[220:221], s[10:11], v[150:151], v[218:219]
	v_add_f64 v[224:225], v[224:225], v[228:229]
	v_mul_f64 v[232:233], v[198:199], s[52:53]
	v_fma_f64 v[242:243], v[178:179], s[22:23], -v[240:241]
	v_add_f64 v[80:81], v[246:247], v[80:81]
	v_mul_f64 v[214:215], v[154:155], s[38:39]
	v_fma_f64 v[138:139], s[14:15], v[148:149], v[216:217]
	v_add_f64 v[220:221], v[220:221], v[224:225]
	v_mul_f64 v[224:225], v[196:197], s[36:37]
	v_fma_f64 v[236:237], v[176:177], s[10:11], -v[232:233]
	v_add_f64 v[80:81], v[242:243], v[80:81]
	v_fma_f64 v[136:137], s[24:25], v[146:147], v[214:215]
	v_add_f64 v[138:139], v[138:139], v[220:221]
	v_mul_f64 v[220:221], v[194:195], s[38:39]
	v_fma_f64 v[228:229], v[174:175], s[14:15], -v[224:225]
	v_add_f64 v[80:81], v[236:237], v[80:81]
	v_add_f64 v[138:139], v[136:137], v[138:139]
	v_fma_f64 v[136:137], v[172:173], s[24:25], -v[220:221]
	v_add_f64 v[80:81], v[228:229], v[80:81]
	v_fma_f64 v[228:229], v[168:169], s[18:19], -v[238:239]
	;; [unrolled: 2-line block ×3, first 2 shown]
	v_fma_f64 v[214:215], v[150:151], s[10:11], -v[218:219]
	v_fma_f64 v[218:219], v[156:157], s[28:29], -v[226:227]
	v_fma_f64 v[226:227], v[164:165], s[6:7], -v[234:235]
	v_add_f64 v[228:229], v[50:51], v[228:229]
	v_fma_f64 v[82:83], v[148:149], s[14:15], -v[216:217]
	v_fma_f64 v[216:217], v[152:153], s[22:23], -v[222:223]
	;; [unrolled: 1-line block ×3, first 2 shown]
	v_add_f64 v[226:227], v[226:227], v[228:229]
	v_add_f64 v[222:223], v[222:223], v[226:227]
	;; [unrolled: 1-line block ×6, first 2 shown]
	v_fmac_f64_e32 v[144:145], s[18:19], v[188:189]
	v_add_f64 v[216:217], v[80:81], v[82:83]
	v_fmac_f64_e32 v[252:253], s[6:7], v[186:187]
	v_add_f64 v[80:81], v[48:49], v[144:145]
	v_fmac_f64_e32 v[248:249], s[16:17], v[184:185]
	v_add_f64 v[80:81], v[252:253], v[80:81]
	v_fmac_f64_e32 v[244:245], s[28:29], v[180:181]
	v_add_f64 v[80:81], v[248:249], v[80:81]
	v_fmac_f64_e32 v[240:241], s[22:23], v[178:179]
	v_add_f64 v[80:81], v[244:245], v[80:81]
	v_fmac_f64_e32 v[232:233], s[10:11], v[176:177]
	v_add_f64 v[80:81], v[240:241], v[80:81]
	v_fmac_f64_e32 v[224:225], s[14:15], v[174:175]
	v_add_f64 v[80:81], v[232:233], v[80:81]
	v_fmac_f64_e32 v[220:221], s[24:25], v[172:173]
	v_add_f64 v[80:81], v[224:225], v[80:81]
	v_add_f64 v[214:215], v[220:221], v[80:81]
	v_mul_f64 v[80:81], v[154:155], s[34:35]
	v_mul_f64 v[144:145], v[158:159], s[30:31]
	;; [unrolled: 1-line block ×5, first 2 shown]
	v_fma_f64 v[82:83], s[28:29], v[146:147], v[80:81]
	v_fma_f64 v[162:163], s[16:17], v[150:151], v[158:159]
	;; [unrolled: 1-line block ×4, first 2 shown]
	v_fma_f64 v[80:81], v[146:147], s[28:29], -v[80:81]
	v_fma_f64 v[146:147], v[150:151], s[16:17], -v[158:159]
	;; [unrolled: 1-line block ×4, first 2 shown]
	v_add_f64 v[192:193], v[50:51], v[192:193]
	v_add_f64 v[156:157], v[50:51], v[156:157]
	;; [unrolled: 1-line block ×7, first 2 shown]
	v_mul_f64 v[224:225], v[190:191], s[46:47]
	v_add_f64 v[50:51], v[50:51], v[78:79]
	v_mul_f64 v[182:183], v[182:183], s[50:51]
	v_fma_f64 v[190:191], s[18:19], v[164:165], v[224:225]
	v_add_f64 v[50:51], v[50:51], v[58:59]
	v_fma_f64 v[222:223], s[14:15], v[160:161], v[182:183]
	v_add_f64 v[190:191], v[190:191], v[192:193]
	v_add_f64 v[50:51], v[50:51], v[102:103]
	v_mul_f64 v[166:167], v[166:167], s[20:21]
	v_add_f64 v[190:191], v[222:223], v[190:191]
	v_add_f64 v[50:51], v[50:51], v[106:107]
	v_fma_f64 v[218:219], s[10:11], v[152:153], v[166:167]
	v_add_f64 v[190:191], v[220:221], v[190:191]
	v_mul_f64 v[208:209], v[208:209], s[40:41]
	v_add_f64 v[50:51], v[50:51], v[98:99]
	v_add_f64 v[190:191], v[218:219], v[190:191]
	v_mul_f64 v[206:207], v[206:207], s[46:47]
	v_fma_f64 v[228:229], v[188:189], s[24:25], -v[208:209]
	v_add_f64 v[22:23], v[50:51], v[22:23]
	v_fma_f64 v[154:155], s[22:23], v[148:149], v[144:145]
	v_add_f64 v[162:163], v[162:163], v[190:191]
	v_mul_f64 v[204:205], v[204:205], s[50:51]
	v_fma_f64 v[222:223], v[186:187], s[18:19], -v[206:207]
	v_add_f64 v[228:229], v[48:49], v[228:229]
	v_add_f64 v[18:19], v[22:23], v[18:19]
	;; [unrolled: 1-line block ×3, first 2 shown]
	v_mul_f64 v[202:203], v[202:203], s[42:43]
	v_fma_f64 v[220:221], v[184:185], s[14:15], -v[204:205]
	v_add_f64 v[222:223], v[222:223], v[228:229]
	v_add_f64 v[14:15], v[18:19], v[14:15]
	;; [unrolled: 1-line block ×3, first 2 shown]
	v_mul_f64 v[82:83], v[194:195], s[34:35]
	v_mul_f64 v[194:195], v[198:199], s[26:27]
	;; [unrolled: 1-line block ×3, first 2 shown]
	v_fma_f64 v[218:219], v[180:181], s[6:7], -v[202:203]
	v_add_f64 v[220:221], v[220:221], v[222:223]
	v_add_f64 v[10:11], v[14:15], v[10:11]
	v_fma_f64 v[200:201], v[178:179], s[10:11], -v[198:199]
	v_add_f64 v[218:219], v[218:219], v[220:221]
	v_add_f64 v[6:7], v[10:11], v[6:7]
	v_mul_f64 v[162:163], v[196:197], s[30:31]
	v_fma_f64 v[196:197], v[176:177], s[16:17], -v[194:195]
	v_add_f64 v[200:201], v[200:201], v[218:219]
	v_add_f64 v[2:3], v[6:7], v[2:3]
	v_add_f64 v[6:7], v[52:53], v[48:49]
	v_fma_f64 v[190:191], v[174:175], s[22:23], -v[162:163]
	v_add_f64 v[196:197], v[196:197], v[200:201]
	v_add_f64 v[6:7], v[60:61], v[6:7]
	v_fma_f64 v[154:155], v[172:173], s[28:29], -v[82:83]
	v_add_f64 v[190:191], v[190:191], v[196:197]
	v_add_f64 v[6:7], v[64:65], v[6:7]
	v_add_f64 v[190:191], v[154:155], v[190:191]
	v_fma_f64 v[154:155], v[164:165], s[18:19], -v[224:225]
	v_add_f64 v[6:7], v[68:69], v[6:7]
	v_fma_f64 v[144:145], v[148:149], s[22:23], -v[144:145]
	v_fma_f64 v[148:149], v[152:153], s[10:11], -v[166:167]
	;; [unrolled: 1-line block ×3, first 2 shown]
	v_add_f64 v[154:155], v[154:155], v[156:157]
	v_add_f64 v[6:7], v[72:73], v[6:7]
	;; [unrolled: 1-line block ×11, first 2 shown]
	v_fmac_f64_e32 v[208:209], s[24:25], v[188:189]
	v_add_f64 v[6:7], v[6:7], v[96:97]
	v_add_f64 v[148:149], v[80:81], v[144:145]
	v_fmac_f64_e32 v[206:207], s[18:19], v[186:187]
	v_add_f64 v[80:81], v[48:49], v[208:209]
	v_add_f64 v[6:7], v[6:7], v[20:21]
	;; [unrolled: 3-line block ×7, first 2 shown]
	v_accvgpr_read_b32 v4, a1
	v_accvgpr_read_b32 v5, a3
	;; [unrolled: 1-line block ×3, first 2 shown]
	v_mov_b32_e32 v144, v213
	v_fmac_f64_e32 v[82:83], s[28:29], v[172:173]
	v_add_f64 v[80:81], v[162:163], v[80:81]
	v_lshl_add_u32 v4, v5, 4, v4
	v_add_f64 v[146:147], v[82:83], v[80:81]
	ds_write_b128 v4, v[0:3]
	ds_write_b128 v4, v[146:149] offset:16
	ds_write_b128 v4, v[214:217] offset:32
	;; [unrolled: 1-line block ×16, first 2 shown]
.LBB0_13:
	s_or_b64 exec, exec, s[4:5]
	s_waitcnt lgkmcnt(0)
	s_barrier
	ds_read_b128 v[0:3], v212
	ds_read_b128 v[4:7], v212 offset:272
	ds_read_b128 v[8:11], v212 offset:544
	;; [unrolled: 1-line block ×6, first 2 shown]
	s_waitcnt lgkmcnt(5)
	v_mul_f64 v[52:53], v[38:39], v[6:7]
	v_fmac_f64_e32 v[52:53], v[36:37], v[4:5]
	v_mul_f64 v[4:5], v[38:39], v[4:5]
	v_fma_f64 v[4:5], v[36:37], v[6:7], -v[4:5]
	s_waitcnt lgkmcnt(4)
	v_mul_f64 v[6:7], v[34:35], v[10:11]
	v_fmac_f64_e32 v[6:7], v[32:33], v[8:9]
	v_mul_f64 v[8:9], v[34:35], v[8:9]
	v_fma_f64 v[8:9], v[32:33], v[10:11], -v[8:9]
	;; [unrolled: 5-line block ×5, first 2 shown]
	s_waitcnt lgkmcnt(0)
	v_mul_f64 v[22:23], v[42:43], v[50:51]
	v_mul_f64 v[24:25], v[42:43], v[48:49]
	v_fmac_f64_e32 v[22:23], v[40:41], v[48:49]
	v_fma_f64 v[24:25], v[40:41], v[50:51], -v[24:25]
	v_add_f64 v[26:27], v[52:53], v[22:23]
	v_add_f64 v[28:29], v[4:5], v[24:25]
	v_add_f64 v[4:5], v[4:5], -v[24:25]
	v_add_f64 v[24:25], v[6:7], v[18:19]
	v_add_f64 v[30:31], v[8:9], v[20:21]
	v_add_f64 v[6:7], v[6:7], -v[18:19]
	v_add_f64 v[18:19], v[10:11], v[14:15]
	v_add_f64 v[10:11], v[14:15], -v[10:11]
	;; [unrolled: 2-line block ×4, first 2 shown]
	v_add_f64 v[16:17], v[30:31], v[28:29]
	v_add_f64 v[14:15], v[18:19], v[14:15]
	s_mov_b32 s4, 0x37e14327
	v_add_f64 v[22:23], v[52:53], -v[22:23]
	v_add_f64 v[32:33], v[24:25], -v[26:27]
	;; [unrolled: 1-line block ×5, first 2 shown]
	v_add_f64 v[36:37], v[10:11], v[6:7]
	v_add_f64 v[16:17], v[20:21], v[16:17]
	;; [unrolled: 1-line block ×3, first 2 shown]
	s_mov_b32 s5, 0x3fe948f6
	s_mov_b32 s10, 0xaaaaaaaa
	v_add_f64 v[24:25], v[18:19], -v[24:25]
	v_add_f64 v[30:31], v[20:21], -v[30:31]
	v_add_f64 v[40:41], v[10:11], -v[6:7]
	v_add_f64 v[10:11], v[22:23], -v[10:11]
	v_add_f64 v[6:7], v[6:7], -v[22:23]
	v_add_f64 v[18:19], v[36:37], v[22:23]
	v_add_f64 v[2:3], v[2:3], v[16:17]
	v_mul_f64 v[20:21], v[26:27], s[4:5]
	v_mul_f64 v[22:23], v[28:29], s[4:5]
	s_mov_b32 s4, 0x36b3c0b5
	s_mov_b32 s11, 0xbff2aaaa
	v_mov_b64_e32 v[44:45], v[0:1]
	s_mov_b32 s5, 0x3fac98ee
	s_mov_b32 s6, 0xe976ee23
	v_fmac_f64_e32 v[44:45], s[10:11], v[14:15]
	v_mov_b64_e32 v[14:15], v[2:3]
	v_add_f64 v[38:39], v[12:13], v[8:9]
	v_add_f64 v[42:43], v[12:13], -v[8:9]
	v_mul_f64 v[26:27], v[24:25], s[4:5]
	v_mul_f64 v[28:29], v[30:31], s[4:5]
	s_mov_b32 s7, 0x3fe11646
	v_fmac_f64_e32 v[14:15], s[10:11], v[16:17]
	s_mov_b32 s11, 0x3fe77f67
	s_mov_b32 s10, 0x5476071b
	v_add_f64 v[12:13], v[4:5], -v[12:13]
	v_add_f64 v[8:9], v[8:9], -v[4:5]
	v_add_f64 v[4:5], v[38:39], v[4:5]
	v_mul_f64 v[36:37], v[40:41], s[6:7]
	v_mul_f64 v[38:39], v[42:43], s[6:7]
	s_mov_b32 s6, 0x429ad128
	v_fma_f64 v[16:17], s[4:5], v[24:25], v[20:21]
	v_fma_f64 v[24:25], v[32:33], s[10:11], -v[26:27]
	v_fma_f64 v[26:27], v[34:35], s[10:11], -v[28:29]
	s_mov_b32 s11, 0xbfe77f67
	s_mov_b32 s7, 0xbfebfeb5
	v_fma_f64 v[28:29], v[34:35], s[10:11], -v[22:23]
	v_fmac_f64_e32 v[22:23], s[4:5], v[30:31]
	s_mov_b32 s5, 0xbfd5d0dc
	s_mov_b32 s4, 0xb247c609
	v_mul_f64 v[40:41], v[6:7], s[6:7]
	v_mul_f64 v[42:43], v[8:9], s[6:7]
	v_fma_f64 v[30:31], s[4:5], v[10:11], v[36:37]
	v_fma_f64 v[34:35], v[8:9], s[6:7], -v[38:39]
	v_fmac_f64_e32 v[38:39], s[4:5], v[12:13]
	s_mov_b32 s5, 0x3fd5d0dc
	v_fma_f64 v[20:21], v[32:33], s[10:11], -v[20:21]
	v_fma_f64 v[32:33], v[6:7], s[6:7], -v[36:37]
	;; [unrolled: 1-line block ×4, first 2 shown]
	s_mov_b32 s4, 0x37c3f68c
	s_mov_b32 s5, 0xbfdc38aa
	v_add_f64 v[42:43], v[16:17], v[44:45]
	v_add_f64 v[46:47], v[22:23], v[14:15]
	;; [unrolled: 1-line block ×5, first 2 shown]
	v_fmac_f64_e32 v[32:33], s[4:5], v[18:19]
	v_fmac_f64_e32 v[36:37], s[4:5], v[18:19]
	v_add_f64 v[20:21], v[20:21], v[44:45]
	v_fmac_f64_e32 v[30:31], s[4:5], v[18:19]
	v_fmac_f64_e32 v[38:39], s[4:5], v[4:5]
	;; [unrolled: 1-line block ×4, first 2 shown]
	v_add_f64 v[14:15], v[32:33], v[22:23]
	v_add_f64 v[18:19], v[22:23], -v[32:33]
	v_add_f64 v[22:23], v[36:37], v[24:25]
	v_add_f64 v[4:5], v[38:39], v[42:43]
	v_add_f64 v[6:7], v[46:47], -v[30:31]
	v_add_f64 v[8:9], v[40:41], v[20:21]
	v_add_f64 v[10:11], v[24:25], -v[36:37]
	v_add_f64 v[12:13], v[16:17], -v[34:35]
	v_add_f64 v[16:17], v[34:35], v[16:17]
	v_add_f64 v[20:21], v[20:21], -v[40:41]
	v_add_f64 v[24:25], v[42:43], -v[38:39]
	v_add_f64 v[26:27], v[30:31], v[46:47]
	ds_write_b128 v211, v[0:3]
	ds_write_b128 v211, v[4:7] offset:272
	ds_write_b128 v211, v[8:11] offset:544
	ds_write_b128 v211, v[12:15] offset:816
	ds_write_b128 v211, v[16:19] offset:1088
	ds_write_b128 v211, v[20:23] offset:1360
	ds_write_b128 v211, v[24:27] offset:1632
	s_and_b64 s[4:5], exec, vcc
	v_accvgpr_read_b32 v22, a2
	s_waitcnt lgkmcnt(0)
	s_barrier
	s_mov_b64 exec, s[4:5]
	s_cbranch_execz .LBB0_15
; %bb.14:
	global_load_dwordx4 v[2:5], v210, s[8:9]
	v_mad_u64_u32 v[14:15], s[4:5], s2, v22, 0
	v_mad_u64_u32 v[16:17], s[6:7], s0, v144, 0
	ds_read_b128 v[6:9], v211
	ds_read_b128 v[10:13], v211 offset:112
	v_mov_b32_e32 v18, v15
	v_mov_b32_e32 v20, v17
	v_mad_u64_u32 v[18:19], s[2:3], s3, v22, v[18:19]
	v_mov_b32_e32 v0, s12
	v_mov_b32_e32 v1, s13
	v_mad_u64_u32 v[20:21], s[2:3], s1, v144, v[20:21]
	v_mov_b32_e32 v15, v18
	v_mov_b32_e32 v17, v20
	v_lshl_add_u64 v[0:1], v[14:15], 4, v[0:1]
	s_mov_b32 s4, 0x1135c811
	v_lshl_add_u64 v[14:15], v[16:17], 4, v[0:1]
	s_mov_b32 s5, 0x3f8135c8
	s_mul_i32 s2, s1, 0x70
	s_mul_i32 s3, s1, 0xe0
	s_waitcnt vmcnt(0) lgkmcnt(1)
	v_mul_f64 v[16:17], v[8:9], v[4:5]
	v_mul_f64 v[4:5], v[6:7], v[4:5]
	v_fmac_f64_e32 v[16:17], v[6:7], v[2:3]
	v_fma_f64 v[4:5], v[2:3], v[8:9], -v[4:5]
	v_mul_f64 v[2:3], v[16:17], s[4:5]
	v_mul_f64 v[4:5], v[4:5], s[4:5]
	global_store_dwordx4 v[14:15], v[2:5], off
	global_load_dwordx4 v[4:7], v210, s[8:9] offset:112
	s_waitcnt vmcnt(0) lgkmcnt(0)
	v_mul_f64 v[8:9], v[12:13], v[6:7]
	v_mov_b32_e32 v2, 0x70
	v_mul_f64 v[6:7], v[10:11], v[6:7]
	v_mad_u64_u32 v[16:17], s[6:7], s0, v2, v[14:15]
	v_fmac_f64_e32 v[8:9], v[10:11], v[4:5]
	v_fma_f64 v[6:7], v[4:5], v[12:13], -v[6:7]
	v_add_u32_e32 v17, s2, v17
	v_mul_f64 v[4:5], v[8:9], s[4:5]
	v_mul_f64 v[6:7], v[6:7], s[4:5]
	global_store_dwordx4 v[16:17], v[4:7], off
	global_load_dwordx4 v[4:7], v210, s[8:9] offset:224
	ds_read_b128 v[8:11], v211 offset:224
	ds_read_b128 v[12:15], v211 offset:336
	v_mad_u64_u32 v[16:17], s[6:7], s0, v2, v[16:17]
	v_add_u32_e32 v17, s2, v17
	v_mov_b32_e32 v3, 0xe0
	s_waitcnt vmcnt(0) lgkmcnt(1)
	v_mul_f64 v[18:19], v[10:11], v[6:7]
	v_mul_f64 v[6:7], v[8:9], v[6:7]
	v_fmac_f64_e32 v[18:19], v[8:9], v[4:5]
	v_fma_f64 v[6:7], v[4:5], v[10:11], -v[6:7]
	v_mul_f64 v[4:5], v[18:19], s[4:5]
	v_mul_f64 v[6:7], v[6:7], s[4:5]
	global_store_dwordx4 v[16:17], v[4:7], off
	global_load_dwordx4 v[4:7], v210, s[8:9] offset:336
	v_mad_u64_u32 v[16:17], s[6:7], s0, v2, v[16:17]
	v_add_u32_e32 v17, s2, v17
	s_waitcnt vmcnt(0) lgkmcnt(0)
	v_mul_f64 v[8:9], v[14:15], v[6:7]
	v_mul_f64 v[6:7], v[12:13], v[6:7]
	v_fmac_f64_e32 v[8:9], v[12:13], v[4:5]
	v_fma_f64 v[6:7], v[4:5], v[14:15], -v[6:7]
	v_mul_f64 v[4:5], v[8:9], s[4:5]
	v_mul_f64 v[6:7], v[6:7], s[4:5]
	global_store_dwordx4 v[16:17], v[4:7], off
	global_load_dwordx4 v[4:7], v210, s[8:9] offset:448
	ds_read_b128 v[8:11], v211 offset:448
	ds_read_b128 v[12:15], v211 offset:560
	v_mad_u64_u32 v[16:17], s[6:7], s0, v2, v[16:17]
	v_add_u32_e32 v17, s2, v17
	s_waitcnt vmcnt(0) lgkmcnt(1)
	v_mul_f64 v[18:19], v[10:11], v[6:7]
	v_mul_f64 v[6:7], v[8:9], v[6:7]
	v_fmac_f64_e32 v[18:19], v[8:9], v[4:5]
	v_fma_f64 v[6:7], v[4:5], v[10:11], -v[6:7]
	v_mul_f64 v[4:5], v[18:19], s[4:5]
	v_mul_f64 v[6:7], v[6:7], s[4:5]
	global_store_dwordx4 v[16:17], v[4:7], off
	global_load_dwordx4 v[4:7], v210, s[8:9] offset:560
	v_mad_u64_u32 v[16:17], s[6:7], s0, v2, v[16:17]
	v_add_u32_e32 v17, s2, v17
	s_waitcnt vmcnt(0) lgkmcnt(0)
	v_mul_f64 v[8:9], v[14:15], v[6:7]
	v_mul_f64 v[6:7], v[12:13], v[6:7]
	v_fmac_f64_e32 v[8:9], v[12:13], v[4:5]
	v_fma_f64 v[6:7], v[4:5], v[14:15], -v[6:7]
	v_mul_f64 v[4:5], v[8:9], s[4:5]
	v_mul_f64 v[6:7], v[6:7], s[4:5]
	global_store_dwordx4 v[16:17], v[4:7], off
	global_load_dwordx4 v[4:7], v210, s[8:9] offset:672
	ds_read_b128 v[8:11], v211 offset:672
	ds_read_b128 v[12:15], v211 offset:784
	v_mad_u64_u32 v[16:17], s[6:7], s0, v2, v[16:17]
	v_add_u32_e32 v17, s2, v17
	s_waitcnt vmcnt(0) lgkmcnt(1)
	v_mul_f64 v[18:19], v[10:11], v[6:7]
	v_mul_f64 v[6:7], v[8:9], v[6:7]
	v_fmac_f64_e32 v[18:19], v[8:9], v[4:5]
	v_fma_f64 v[6:7], v[4:5], v[10:11], -v[6:7]
	v_mul_f64 v[4:5], v[18:19], s[4:5]
	v_mul_f64 v[6:7], v[6:7], s[4:5]
	global_store_dwordx4 v[16:17], v[4:7], off
	global_load_dwordx4 v[4:7], v210, s[8:9] offset:784
	v_mad_u64_u32 v[16:17], s[6:7], s0, v2, v[16:17]
	v_add_u32_e32 v17, s2, v17
	v_mad_u64_u32 v[18:19], s[6:7], s0, v145, 0
	v_mov_b32_e32 v20, v19
	v_mad_u64_u32 v[20:21], s[6:7], s1, v145, v[20:21]
	v_mov_b32_e32 v19, v20
	v_lshl_add_u64 v[18:19], v[18:19], 4, v[0:1]
	s_waitcnt vmcnt(0) lgkmcnt(0)
	v_mul_f64 v[8:9], v[14:15], v[6:7]
	v_mul_f64 v[6:7], v[12:13], v[6:7]
	v_fmac_f64_e32 v[8:9], v[12:13], v[4:5]
	v_fma_f64 v[6:7], v[4:5], v[14:15], -v[6:7]
	v_mul_f64 v[4:5], v[8:9], s[4:5]
	v_mul_f64 v[6:7], v[6:7], s[4:5]
	global_store_dwordx4 v[16:17], v[4:7], off
	global_load_dwordx4 v[4:7], v210, s[8:9] offset:896
	ds_read_b128 v[8:11], v211 offset:896
	ds_read_b128 v[12:15], v211 offset:1008
	v_mad_u64_u32 v[16:17], s[6:7], s0, v3, v[16:17]
	v_add_u32_e32 v17, s3, v17
	s_waitcnt vmcnt(0) lgkmcnt(1)
	v_mul_f64 v[20:21], v[10:11], v[6:7]
	v_mul_f64 v[6:7], v[8:9], v[6:7]
	v_fmac_f64_e32 v[20:21], v[8:9], v[4:5]
	v_fma_f64 v[6:7], v[4:5], v[10:11], -v[6:7]
	v_mul_f64 v[4:5], v[20:21], s[4:5]
	v_mul_f64 v[6:7], v[6:7], s[4:5]
	global_store_dwordx4 v[18:19], v[4:7], off
	global_load_dwordx4 v[4:7], v210, s[8:9] offset:1008
	s_waitcnt vmcnt(0) lgkmcnt(0)
	v_mul_f64 v[8:9], v[14:15], v[6:7]
	v_mul_f64 v[6:7], v[12:13], v[6:7]
	v_fmac_f64_e32 v[8:9], v[12:13], v[4:5]
	v_fma_f64 v[6:7], v[4:5], v[14:15], -v[6:7]
	v_mul_f64 v[4:5], v[8:9], s[4:5]
	v_mul_f64 v[6:7], v[6:7], s[4:5]
	global_store_dwordx4 v[16:17], v[4:7], off
	global_load_dwordx4 v[4:7], v210, s[8:9] offset:1120
	ds_read_b128 v[8:11], v211 offset:1120
	ds_read_b128 v[12:15], v211 offset:1232
	v_mad_u64_u32 v[16:17], s[6:7], s0, v2, v[16:17]
	v_add_u32_e32 v17, s2, v17
	s_waitcnt vmcnt(0) lgkmcnt(1)
	v_mul_f64 v[18:19], v[10:11], v[6:7]
	v_mul_f64 v[6:7], v[8:9], v[6:7]
	v_fmac_f64_e32 v[18:19], v[8:9], v[4:5]
	v_fma_f64 v[6:7], v[4:5], v[10:11], -v[6:7]
	v_mul_f64 v[4:5], v[18:19], s[4:5]
	v_mul_f64 v[6:7], v[6:7], s[4:5]
	global_store_dwordx4 v[16:17], v[4:7], off
	global_load_dwordx4 v[4:7], v210, s[8:9] offset:1232
	v_mad_u64_u32 v[16:17], s[6:7], s0, v2, v[16:17]
	v_add_u32_e32 v17, s2, v17
	s_waitcnt vmcnt(0) lgkmcnt(0)
	v_mul_f64 v[8:9], v[14:15], v[6:7]
	v_mul_f64 v[6:7], v[12:13], v[6:7]
	v_fmac_f64_e32 v[8:9], v[12:13], v[4:5]
	v_fma_f64 v[6:7], v[4:5], v[14:15], -v[6:7]
	v_mul_f64 v[4:5], v[8:9], s[4:5]
	v_mul_f64 v[6:7], v[6:7], s[4:5]
	global_store_dwordx4 v[16:17], v[4:7], off
	global_load_dwordx4 v[4:7], v210, s[8:9] offset:1344
	ds_read_b128 v[8:11], v211 offset:1344
	ds_read_b128 v[12:15], v211 offset:1456
	v_mad_u64_u32 v[16:17], s[6:7], s0, v2, v[16:17]
	v_add_u32_e32 v17, s2, v17
	s_waitcnt vmcnt(0) lgkmcnt(1)
	v_mul_f64 v[18:19], v[10:11], v[6:7]
	v_mul_f64 v[6:7], v[8:9], v[6:7]
	v_fmac_f64_e32 v[18:19], v[8:9], v[4:5]
	v_fma_f64 v[6:7], v[4:5], v[10:11], -v[6:7]
	v_mul_f64 v[4:5], v[18:19], s[4:5]
	v_mul_f64 v[6:7], v[6:7], s[4:5]
	global_store_dwordx4 v[16:17], v[4:7], off
	global_load_dwordx4 v[4:7], v210, s[8:9] offset:1456
	v_mad_u64_u32 v[16:17], s[6:7], s0, v2, v[16:17]
	v_add_u32_e32 v17, s2, v17
	;; [unrolled: 24-line block ×3, first 2 shown]
	s_waitcnt vmcnt(0) lgkmcnt(0)
	v_mul_f64 v[2:3], v[14:15], v[6:7]
	v_mul_f64 v[6:7], v[12:13], v[6:7]
	v_fmac_f64_e32 v[2:3], v[12:13], v[4:5]
	v_fma_f64 v[4:5], v[4:5], v[14:15], -v[6:7]
	v_mul_f64 v[2:3], v[2:3], s[4:5]
	v_mul_f64 v[4:5], v[4:5], s[4:5]
	global_store_dwordx4 v[8:9], v[2:5], off
	global_load_dwordx4 v[2:5], v210, s[8:9] offset:1792
	ds_read_b128 v[6:9], v211 offset:1792
	v_or_b32_e32 v13, 0x70, v144
	v_mad_u64_u32 v[10:11], s[2:3], s0, v13, 0
	v_mov_b32_e32 v12, v11
	v_mad_u64_u32 v[12:13], s[0:1], s1, v13, v[12:13]
	v_mov_b32_e32 v11, v12
	v_lshl_add_u64 v[0:1], v[10:11], 4, v[0:1]
	s_waitcnt vmcnt(0) lgkmcnt(0)
	v_mul_f64 v[12:13], v[8:9], v[4:5]
	v_mul_f64 v[4:5], v[6:7], v[4:5]
	v_fmac_f64_e32 v[12:13], v[6:7], v[2:3]
	v_fma_f64 v[4:5], v[2:3], v[8:9], -v[4:5]
	v_mul_f64 v[2:3], v[12:13], s[4:5]
	v_mul_f64 v[4:5], v[4:5], s[4:5]
	global_store_dwordx4 v[0:1], v[2:5], off
.LBB0_15:
	s_endpgm
	.section	.rodata,"a",@progbits
	.p2align	6, 0x0
	.amdhsa_kernel bluestein_single_fwd_len119_dim1_dp_op_CI_CI
		.amdhsa_group_segment_fixed_size 28560
		.amdhsa_private_segment_fixed_size 0
		.amdhsa_kernarg_size 104
		.amdhsa_user_sgpr_count 2
		.amdhsa_user_sgpr_dispatch_ptr 0
		.amdhsa_user_sgpr_queue_ptr 0
		.amdhsa_user_sgpr_kernarg_segment_ptr 1
		.amdhsa_user_sgpr_dispatch_id 0
		.amdhsa_user_sgpr_kernarg_preload_length 0
		.amdhsa_user_sgpr_kernarg_preload_offset 0
		.amdhsa_user_sgpr_private_segment_size 0
		.amdhsa_uses_dynamic_stack 0
		.amdhsa_enable_private_segment 0
		.amdhsa_system_sgpr_workgroup_id_x 1
		.amdhsa_system_sgpr_workgroup_id_y 0
		.amdhsa_system_sgpr_workgroup_id_z 0
		.amdhsa_system_sgpr_workgroup_info 0
		.amdhsa_system_vgpr_workitem_id 0
		.amdhsa_next_free_vgpr 350
		.amdhsa_next_free_sgpr 58
		.amdhsa_accum_offset 256
		.amdhsa_reserve_vcc 1
		.amdhsa_float_round_mode_32 0
		.amdhsa_float_round_mode_16_64 0
		.amdhsa_float_denorm_mode_32 3
		.amdhsa_float_denorm_mode_16_64 3
		.amdhsa_dx10_clamp 1
		.amdhsa_ieee_mode 1
		.amdhsa_fp16_overflow 0
		.amdhsa_tg_split 0
		.amdhsa_exception_fp_ieee_invalid_op 0
		.amdhsa_exception_fp_denorm_src 0
		.amdhsa_exception_fp_ieee_div_zero 0
		.amdhsa_exception_fp_ieee_overflow 0
		.amdhsa_exception_fp_ieee_underflow 0
		.amdhsa_exception_fp_ieee_inexact 0
		.amdhsa_exception_int_div_zero 0
	.end_amdhsa_kernel
	.text
.Lfunc_end0:
	.size	bluestein_single_fwd_len119_dim1_dp_op_CI_CI, .Lfunc_end0-bluestein_single_fwd_len119_dim1_dp_op_CI_CI
                                        ; -- End function
	.section	.AMDGPU.csdata,"",@progbits
; Kernel info:
; codeLenInByte = 20848
; NumSgprs: 64
; NumVgprs: 256
; NumAgprs: 94
; TotalNumVgprs: 350
; ScratchSize: 0
; MemoryBound: 0
; FloatMode: 240
; IeeeMode: 1
; LDSByteSize: 28560 bytes/workgroup (compile time only)
; SGPRBlocks: 7
; VGPRBlocks: 43
; NumSGPRsForWavesPerEU: 64
; NumVGPRsForWavesPerEU: 350
; AccumOffset: 256
; Occupancy: 1
; WaveLimiterHint : 1
; COMPUTE_PGM_RSRC2:SCRATCH_EN: 0
; COMPUTE_PGM_RSRC2:USER_SGPR: 2
; COMPUTE_PGM_RSRC2:TRAP_HANDLER: 0
; COMPUTE_PGM_RSRC2:TGID_X_EN: 1
; COMPUTE_PGM_RSRC2:TGID_Y_EN: 0
; COMPUTE_PGM_RSRC2:TGID_Z_EN: 0
; COMPUTE_PGM_RSRC2:TIDIG_COMP_CNT: 0
; COMPUTE_PGM_RSRC3_GFX90A:ACCUM_OFFSET: 63
; COMPUTE_PGM_RSRC3_GFX90A:TG_SPLIT: 0
	.text
	.p2alignl 6, 3212836864
	.fill 256, 4, 3212836864
	.type	__hip_cuid_3dad2ea44d2d2d45,@object ; @__hip_cuid_3dad2ea44d2d2d45
	.section	.bss,"aw",@nobits
	.globl	__hip_cuid_3dad2ea44d2d2d45
__hip_cuid_3dad2ea44d2d2d45:
	.byte	0                               ; 0x0
	.size	__hip_cuid_3dad2ea44d2d2d45, 1

	.ident	"AMD clang version 19.0.0git (https://github.com/RadeonOpenCompute/llvm-project roc-6.4.0 25133 c7fe45cf4b819c5991fe208aaa96edf142730f1d)"
	.section	".note.GNU-stack","",@progbits
	.addrsig
	.addrsig_sym __hip_cuid_3dad2ea44d2d2d45
	.amdgpu_metadata
---
amdhsa.kernels:
  - .agpr_count:     94
    .args:
      - .actual_access:  read_only
        .address_space:  global
        .offset:         0
        .size:           8
        .value_kind:     global_buffer
      - .actual_access:  read_only
        .address_space:  global
        .offset:         8
        .size:           8
        .value_kind:     global_buffer
      - .actual_access:  read_only
        .address_space:  global
        .offset:         16
        .size:           8
        .value_kind:     global_buffer
      - .actual_access:  read_only
        .address_space:  global
        .offset:         24
        .size:           8
        .value_kind:     global_buffer
      - .actual_access:  read_only
        .address_space:  global
        .offset:         32
        .size:           8
        .value_kind:     global_buffer
      - .offset:         40
        .size:           8
        .value_kind:     by_value
      - .address_space:  global
        .offset:         48
        .size:           8
        .value_kind:     global_buffer
      - .address_space:  global
        .offset:         56
        .size:           8
        .value_kind:     global_buffer
      - .address_space:  global
        .offset:         64
        .size:           8
        .value_kind:     global_buffer
      - .address_space:  global
        .offset:         72
        .size:           8
        .value_kind:     global_buffer
      - .offset:         80
        .size:           4
        .value_kind:     by_value
      - .address_space:  global
        .offset:         88
        .size:           8
        .value_kind:     global_buffer
      - .address_space:  global
        .offset:         96
        .size:           8
        .value_kind:     global_buffer
    .group_segment_fixed_size: 28560
    .kernarg_segment_align: 8
    .kernarg_segment_size: 104
    .language:       OpenCL C
    .language_version:
      - 2
      - 0
    .max_flat_workgroup_size: 255
    .name:           bluestein_single_fwd_len119_dim1_dp_op_CI_CI
    .private_segment_fixed_size: 0
    .sgpr_count:     64
    .sgpr_spill_count: 0
    .symbol:         bluestein_single_fwd_len119_dim1_dp_op_CI_CI.kd
    .uniform_work_group_size: 1
    .uses_dynamic_stack: false
    .vgpr_count:     350
    .vgpr_spill_count: 0
    .wavefront_size: 64
amdhsa.target:   amdgcn-amd-amdhsa--gfx950
amdhsa.version:
  - 1
  - 2
...

	.end_amdgpu_metadata
